;; amdgpu-corpus repo=ROCm/MIOpen kind=compiled arch=gfx1250 opt=O3
	.amdgcn_target "amdgcn-amd-amdhsa--gfx1250"
	.amdhsa_code_object_version 6
	.text
	.protected	SoftMaxWarp             ; -- Begin function SoftMaxWarp
	.globl	SoftMaxWarp
	.p2align	8
	.type	SoftMaxWarp,@function
SoftMaxWarp:                            ; @SoftMaxWarp
; %bb.0:
	s_load_b128 s[8:11], s[2:3], 0x30
	s_mov_b32 s39, 1.0
	s_mov_b32 s40, 1.0
	s_wait_kmcnt 0x0
	s_cmp_eq_u64 s[8:9], 0
	s_cbranch_scc1 .LBB0_2
; %bb.1:
	s_load_b32 s40, s[8:9], 0x0
.LBB0_2:
	s_wait_xcnt 0x0
	s_clause 0x1
	s_load_b64 s[8:9], s[2:3], 0x58
	s_load_b128 s[4:7], s[2:3], 0x48
	s_cmp_eq_u64 s[10:11], 0
	s_cbranch_scc1 .LBB0_4
; %bb.3:
	s_load_b32 s39, s[10:11], 0x0
.LBB0_4:
	s_wait_xcnt 0x0
	s_load_b64 s[10:11], s[2:3], 0x40
	s_wait_kmcnt 0x0
	s_cmp_eq_u64 s[8:9], 0
	s_mov_b32 s33, 0
	s_cselect_b32 s12, -1, 0
	s_cmp_eq_u64 s[4:5], 0
	s_cselect_b32 s13, -1, 0
	s_delay_alu instid0(SALU_CYCLE_1) | instskip(SKIP_2) | instid1(SALU_CYCLE_1)
	s_or_b32 s12, s13, s12
	s_cmp_eq_u64 s[6:7], 0
	s_cselect_b32 s13, -1, 0
	s_or_b32 s12, s13, s12
	s_delay_alu instid0(SALU_CYCLE_1)
	s_and_b32 vcc_lo, exec_lo, s12
	s_cbranch_vccnz .LBB0_6
; %bb.5:
	s_load_b32 s33, s[8:9], 0x0
.LBB0_6:
	s_cmp_eq_u64 s[10:11], 0
	s_cbranch_scc1 .LBB0_8
; %bb.7:
	s_load_b32 s41, s[10:11], 0x0
	s_branch .LBB0_9
.LBB0_8:
	s_mov_b32 s41, 1.0
.LBB0_9:
	s_load_b64 s[28:29], s[2:3], 0x28
	s_wait_kmcnt 0x0
	s_cmp_gt_f32 s33, 0
	s_getreg_b32 s10, hwreg(HW_REG_IB_STS2, 6, 4)
	v_and_b32_e32 v12, 0x3ff, v0
	s_cselect_b32 s38, -1, 0
	s_bfe_u32 s8, ttmp6, 0x4000c
	s_and_b32 s9, ttmp6, 15
	s_add_co_i32 s8, s8, 1
	s_delay_alu instid0(SALU_CYCLE_1) | instskip(NEXT) | instid1(SALU_CYCLE_1)
	s_mul_i32 s8, ttmp9, s8
	s_add_co_i32 s9, s9, s8
	s_cmp_eq_u32 s10, 0
	s_cselect_b32 s42, ttmp9, s9
	s_cmp_ngt_f32 s33, 0
	s_cbranch_scc1 .LBB0_18
; %bb.10:
	s_load_b32 s10, s[2:3], 0x7c
	s_load_b64 s[8:9], s[4:5], 0x0
	v_mov_b32_e32 v3, 0
	v_bfe_u32 v1, v0, 10, 10
	v_bfe_u32 v0, v0, 20, 10
	s_wait_kmcnt 0x0
	s_and_b32 s4, s10, 0xffff
	s_delay_alu instid0(SALU_CYCLE_1) | instskip(SKIP_1) | instid1(VALU_DEP_1)
	v_mad_u32 v2, s42, s4, v12
	s_load_b64 s[4:5], s[0:1], 0x4
	v_add_nc_u64_e32 v[2:3], s[8:9], v[2:3]
	s_wait_xcnt 0x0
	s_load_b64 s[0:1], s[6:7], 0x0
	s_delay_alu instid0(VALU_DEP_1) | instskip(SKIP_4) | instid1(SALU_CYCLE_1)
	v_lshrrev_b64 v[4:5], 30, v[2:3]
	s_wait_kmcnt 0x0
	s_lshr_b32 s4, s4, 16
	v_mul_u32_u24_e32 v1, s5, v1
	s_mul_i32 s4, s4, s5
	v_mul_u32_u24_e32 v6, s4, v12
	s_delay_alu instid0(VALU_DEP_3) | instskip(SKIP_1) | instid1(VALU_DEP_3)
	v_xor_b32_e32 v3, v5, v3
	v_xor_b32_e32 v2, v4, v2
	v_add3_u32 v0, v6, v1, v0
	s_delay_alu instid0(VALU_DEP_2) | instskip(SKIP_1) | instid1(VALU_DEP_2)
	v_mul_u64_e32 v[2:3], 0xbf58476d1ce4e5b9, v[2:3]
	s_cmp_eq_u64 s[0:1], 0
	v_mul_lo_u32 v6, v0, 48
	s_delay_alu instid0(VALU_DEP_2) | instskip(NEXT) | instid1(VALU_DEP_1)
	v_lshrrev_b64 v[4:5], 27, v[2:3]
	v_xor_b32_e32 v3, v5, v3
	s_delay_alu instid0(VALU_DEP_2) | instskip(NEXT) | instid1(VALU_DEP_1)
	v_xor_b32_e32 v2, v4, v2
	v_mul_u64_e32 v[2:3], 0x94d049bb133111eb, v[2:3]
	s_delay_alu instid0(VALU_DEP_1) | instskip(NEXT) | instid1(VALU_DEP_1)
	v_lshrrev_b64 v[4:5], 31, v[2:3]
	v_xor_b32_e32 v2, v4, v2
	s_delay_alu instid0(VALU_DEP_2) | instskip(NEXT) | instid1(VALU_DEP_2)
	v_xor_b32_e32 v3, v5, v3
	v_xor_b32_e32 v2, 0x2c7f967f, v2
	s_delay_alu instid0(VALU_DEP_2) | instskip(NEXT) | instid1(VALU_DEP_2)
	v_xor_b32_e32 v3, 0xa03697cb, v3
	v_mul_lo_u32 v4, 0x493c4aa1, v2
	s_delay_alu instid0(VALU_DEP_2) | instskip(NEXT) | instid1(VALU_DEP_2)
	v_mul_lo_u32 v5, 0x7b99840d, v3
	v_add_nc_u32_e32 v0, 0x75bcd15, v4
	v_xor_b32_e32 v1, 0x159a55e5, v4
	s_delay_alu instid0(VALU_DEP_3)
	v_add_nc_u32_e32 v2, 0x1f123bb5, v5
	v_xor_b32_e32 v3, 0x5491333, v5
	v_add_nc_u32_e32 v13, 0x583f19, v4
	ds_store_2addr_b64 v6, v[0:1], v[2:3] offset0:4 offset1:5
	ds_store_b32 v6, v13 offset:48
	s_cbranch_scc1 .LBB0_19
; %bb.11:
	v_or_b32_e32 v6, 8, v6
	s_mov_b64 s[34:35], s[0:1]
	s_get_pc_i64 s[30:31]
	s_add_nc_u64 s[30:31], s[30:31], _ZL22d_xorwow_jump_matrices@rel64+4
	s_branch .LBB0_13
.LBB0_12:                               ;   in Loop: Header=BB0_13 Depth=1
	v_cmp_lt_u64_e64 s1, s[34:35], 4
	s_lshr_b64 s[34:35], s[34:35], 2
	s_add_nc_u64 s[30:31], s[30:31], 0xc80
	s_and_b32 vcc_lo, exec_lo, s1
	s_cbranch_vccnz .LBB0_19
.LBB0_13:                               ; =>This Loop Header: Depth=1
                                        ;     Child Loop BB0_15 Depth 2
                                        ;       Child Loop BB0_16 Depth 3
	s_and_b32 s1, s34, 3
	s_delay_alu instid0(SALU_CYCLE_1)
	s_cmp_eq_u32 s1, 0
	s_cbranch_scc1 .LBB0_12
; %bb.14:                               ;   in Loop: Header=BB0_13 Depth=1
	s_mov_b32 s43, 0
.LBB0_15:                               ;   Parent Loop BB0_13 Depth=1
                                        ; =>  This Loop Header: Depth=2
                                        ;       Child Loop BB0_16 Depth 3
	v_dual_mov_b32 v0, 0 :: v_dual_mov_b32 v1, 0
	v_dual_mov_b32 v2, 0 :: v_dual_mov_b32 v3, 0
	v_mov_b32_e32 v13, 0
	s_mov_b32 s44, 4
	s_mov_b64 s[36:37], s[30:31]
.LBB0_16:                               ;   Parent Loop BB0_13 Depth=1
                                        ;     Parent Loop BB0_15 Depth=2
                                        ; =>    This Inner Loop Header: Depth=3
	s_add_co_i32 s45, s44, -4
	s_add_co_i32 s46, s44, -3
	;; [unrolled: 1-line block ×3, first 2 shown]
	s_lshr_b32 s50, s44, 3
	s_lshr_b32 s51, s45, 3
	s_add_co_i32 s48, s44, -1
	s_lshr_b32 s52, s46, 3
	s_lshr_b32 s53, s47, 3
	s_and_b32 s50, s50, 0x1ffffffc
	s_and_b32 s51, s51, 0x1ffffffc
	s_lshr_b32 s54, s48, 3
	s_and_b32 s52, s52, 0x1ffffffc
	s_and_b32 s53, s53, 0x1ffffffc
	v_dual_add_nc_u32 v7, s50, v6 :: v_dual_add_nc_u32 v8, s51, v6
	s_and_b32 s54, s54, 0x1ffffffc
	v_dual_add_nc_u32 v9, s52, v6 :: v_dual_add_nc_u32 v10, s53, v6
	v_add_nc_u32_e32 v11, s54, v6
	s_clause 0x2
	s_load_b512 s[4:19], s[36:37], 0x0
	s_load_b32 s49, s[36:37], 0x60
	s_load_b256 s[20:27], s[36:37], 0x40
	ds_load_b32 v8, v8 offset:24
	ds_load_b32 v9, v9 offset:24
	;; [unrolled: 1-line block ×5, first 2 shown]
	s_wait_xcnt 0x0
	s_add_nc_u64 s[36:37], s[36:37], 0x64
	s_wait_dscnt 0x3
	v_dual_lshrrev_b32 v8, s45, v8 :: v_dual_lshrrev_b32 v9, s46, v9
	s_wait_dscnt 0x2
	v_lshrrev_b32_e32 v10, s47, v10
	s_delay_alu instid0(VALU_DEP_2) | instskip(NEXT) | instid1(VALU_DEP_3)
	v_bfe_i32 v8, v8, 0, 1
	v_bfe_i32 v9, v9, 0, 1
	s_wait_dscnt 0x1
	v_lshrrev_b32_e32 v11, s48, v11
	s_wait_dscnt 0x0
	v_lshrrev_b32_e32 v7, s44, v7
	v_bfe_i32 v10, v10, 0, 1
	s_wait_kmcnt 0x0
	v_bitop3_b32 v0, v8, v0, s4 bitop3:0x6c
	v_bitop3_b32 v1, v8, v1, s5 bitop3:0x6c
	v_bitop3_b32 v2, v8, v2, s6 bitop3:0x6c
	v_bitop3_b32 v3, v8, v3, s7 bitop3:0x6c
	v_bitop3_b32 v8, v8, v13, s8 bitop3:0x6c
	v_and_b32_e32 v13, s9, v9
	v_bfe_i32 v11, v11, 0, 1
	v_and_b32_e32 v14, s10, v9
	v_bfe_i32 v7, v7, 0, 1
	v_and_b32_e32 v15, s11, v9
	v_and_b32_e32 v16, s12, v9
	;; [unrolled: 1-line block ×18, first 2 shown]
	v_xor3_b32 v0, v13, v0, v17
	v_xor3_b32 v1, v14, v1, v18
	;; [unrolled: 1-line block ×10, first 2 shown]
	s_add_co_i32 s44, s44, 5
	s_delay_alu instid0(SALU_CYCLE_1)
	s_cmp_lg_u32 s44, 0xa4
	s_cbranch_scc1 .LBB0_16
; %bb.17:                               ;   in Loop: Header=BB0_15 Depth=2
	s_add_co_i32 s43, s43, 1
	ds_store_2addr_b64 v6, v[0:1], v[2:3] offset0:3 offset1:4
	ds_store_b32 v6, v13 offset:40
	s_cmp_eq_u32 s43, s1
	s_cbranch_scc0 .LBB0_15
	s_branch .LBB0_12
.LBB0_18:
	v_mov_b32_e32 v13, 0x5ada9af8
	v_mov_b32_e32 v3, 0x8f14727c
	;; [unrolled: 1-line block ×6, first 2 shown]
	s_branch .LBB0_20
.LBB0_19:
	s_mul_i32 s0, s0, 0x587c5
	s_delay_alu instid0(SALU_CYCLE_1) | instskip(NEXT) | instid1(SALU_CYCLE_1)
	s_add_co_i32 s0, s0, 0x64f0c9
	v_add3_u32 v15, s0, v4, v5
.LBB0_20:
	s_clause 0x2
	s_load_b128 s[4:7], s[2:3], 0x10
	s_load_b64 s[12:13], s[2:3], 0x20
	s_load_b64 s[14:15], s[2:3], 0x68
	v_dual_mov_b32 v5, 0 :: v_dual_lshrrev_b32 v14, 5, v12
	v_and_b32_e32 v10, 31, v12
	s_mov_b32 s17, 0
	s_mov_b32 s20, exec_lo
	s_delay_alu instid0(VALU_DEP_2) | instskip(NEXT) | instid1(VALU_DEP_2)
	v_lshl_add_u32 v4, s42, 1, v14
	v_cmp_eq_u32_e64 s0, 0, v10
	s_wait_kmcnt 0x0
	s_delay_alu instid0(VALU_DEP_2)
	v_cmpx_gt_u64_e64 s[14:15], v[4:5]
	s_cbranch_execz .LBB0_34
; %bb.21:
	s_clause 0x2
	s_load_b32 s18, s[2:3], 0x60
	s_load_b32 s1, s[2:3], 0x70
	s_load_b128 s[8:11], s[2:3], 0x0
	s_sub_f32 s24, 1.0, s33
	s_mov_b32 s19, s17
	s_cmp_lg_u64 s[4:5], 0
	s_mul_f32 s21, s40, s39
	v_div_scale_f32 v6, null, s24, s24, s41
	v_div_scale_f32 v21, vcc_lo, s41, s24, s41
	s_wait_xcnt 0x0
	s_cselect_b32 s2, -1, 0
	s_delay_alu instid0(VALU_DEP_2) | instskip(SKIP_4) | instid1(SALU_CYCLE_1)
	v_rcp_f32_e32 v11, v6
	v_xor_b32_e32 v20, 0x80000000, v6
	s_cmp_lg_u64 s[6:7], 0
	v_lshlrev_b32_e32 v18, 2, v10
	s_cselect_b32 s3, -1, 0
	s_and_b32 s2, s2, s3
	s_delay_alu instid0(TRANS32_DEP_1)
	v_fma_f32 v6, v20, v11, 1.0
	s_wait_kmcnt 0x0
	v_mul_u64_e32 v[16:17], s[18:19], v[4:5]
	s_and_b32 s22, s0, s2
	s_cmp_lg_u64 s[12:13], 0
	v_fmac_f32_e32 v11, v6, v11
	v_mov_b64_e32 v[6:7], v[4:5]
	s_cselect_b32 s23, -1, 0
	s_lshl_b32 s16, s1, 1
	v_cmp_gt_u32_e64 s1, s18, v10
	v_mul_f32_e32 v22, v21, v11
	s_mul_u64 s[2:3], s[18:19], s[16:17]
	s_lshl_b64 s[18:19], s[16:17], 2
	s_lshl_b64 s[2:3], s[2:3], 2
	s_delay_alu instid0(VALU_DEP_1) | instskip(NEXT) | instid1(VALU_DEP_1)
	v_dual_fma_f32 v8, v20, v22, v21 :: v_dual_mov_b32 v19, 0
	v_fmac_f32_e32 v22, v8, v11
	v_lshlrev_b64_e32 v[8:9], 2, v[4:5]
	s_delay_alu instid0(VALU_DEP_2) | instskip(NEXT) | instid1(VALU_DEP_1)
	v_dual_mov_b32 v5, v19 :: v_dual_fmac_f32 v21, v20, v22
	v_div_fmas_f32 v4, v21, v11, v22
	v_lshl_add_u64 v[10:11], v[16:17], 2, v[18:19]
	s_delay_alu instid0(VALU_DEP_2)
	v_div_fixup_f32 v4, v4, s24, s41
	s_mov_b32 s24, s17
	s_branch .LBB0_23
.LBB0_22:                               ;   in Loop: Header=BB0_23 Depth=1
	s_wait_xcnt 0x0
	s_or_b32 exec_lo, exec_lo, s25
	v_add_nc_u64_e32 v[6:7], s[16:17], v[6:7]
	v_max_num_f32_e32 v16, v17, v17
	v_max_num_f32_e32 v5, v5, v5
	v_add_nc_u64_e32 v[10:11], s[2:3], v[10:11]
	v_add_nc_u64_e32 v[8:9], s[18:19], v[8:9]
	s_delay_alu instid0(VALU_DEP_3) | instskip(SKIP_2) | instid1(SALU_CYCLE_1)
	v_max_num_f32_e32 v5, v5, v16
	v_cmp_le_u64_e32 vcc_lo, s[14:15], v[6:7]
	s_or_b32 s24, vcc_lo, s24
	s_and_not1_b32 exec_lo, exec_lo, s24
	s_cbranch_execz .LBB0_33
.LBB0_23:                               ; =>This Inner Loop Header: Depth=1
	v_mov_b32_e32 v17, 0xff7fffff
	s_and_saveexec_b32 s25, s1
	s_cbranch_execz .LBB0_25
; %bb.24:                               ;   in Loop: Header=BB0_23 Depth=1
	v_add_nc_u64_e32 v[16:17], s[8:9], v[10:11]
	global_load_b32 v16, v[16:17], off
	s_wait_loadcnt 0x0
	s_wait_xcnt 0x0
	v_mul_f32_e32 v17, s21, v16
.LBB0_25:                               ;   in Loop: Header=BB0_23 Depth=1
	s_or_b32 exec_lo, exec_lo, s25
	s_delay_alu instid0(SALU_CYCLE_1)
	s_and_not1_b32 vcc_lo, exec_lo, s23
	s_cbranch_vccnz .LBB0_27
; %bb.26:                               ;   in Loop: Header=BB0_23 Depth=1
	v_add_nc_u64_e32 v[18:19], s[12:13], v[10:11]
	global_load_b32 v16, v[18:19], off
	s_wait_loadcnt 0x0
	v_sub_f32_e32 v17, v17, v16
.LBB0_27:                               ;   in Loop: Header=BB0_23 Depth=1
	ds_swizzle_b32 v16, v17 offset:swizzle(SWAP,1)
	s_wait_dscnt 0x0
	s_wait_xcnt 0x0
	v_dual_max_num_f32 v18, v17, v17 :: v_dual_max_num_f32 v16, v16, v16
	s_delay_alu instid0(VALU_DEP_1) | instskip(SKIP_3) | instid1(VALU_DEP_1)
	v_max_num_f32_e32 v16, v16, v18
	ds_swizzle_b32 v18, v16 offset:swizzle(SWAP,2)
	s_wait_dscnt 0x0
	v_max_num_f32_e32 v18, v18, v18
	v_max_num_f32_e32 v16, v18, v16
	ds_swizzle_b32 v18, v16 offset:swizzle(SWAP,4)
	s_wait_dscnt 0x0
	v_max_num_f32_e32 v18, v18, v18
	s_delay_alu instid0(VALU_DEP_1) | instskip(SKIP_3) | instid1(VALU_DEP_1)
	v_max_num_f32_e32 v16, v18, v16
	ds_swizzle_b32 v18, v16 offset:swizzle(SWAP,8)
	s_wait_dscnt 0x0
	v_max_num_f32_e32 v18, v18, v18
	v_max_num_f32_e32 v16, v18, v16
	ds_swizzle_b32 v18, v16 offset:swizzle(SWAP,16)
	s_wait_dscnt 0x0
	v_max_num_f32_e32 v18, v18, v18
	s_delay_alu instid0(VALU_DEP_1) | instskip(NEXT) | instid1(VALU_DEP_1)
	v_max_num_f32_e32 v16, v18, v16
	v_sub_f32_e32 v17, v17, v16
	s_delay_alu instid0(VALU_DEP_1) | instskip(NEXT) | instid1(VALU_DEP_1)
	v_mul_f32_e32 v18, 0x3fb8aa3b, v17
	v_fma_f32 v19, 0x3fb8aa3b, v17, -v18
	v_rndne_f32_e32 v20, v18
	s_delay_alu instid0(VALU_DEP_1) | instskip(NEXT) | instid1(VALU_DEP_1)
	v_dual_fmac_f32 v19, 0x32a5705f, v17 :: v_dual_sub_f32 v18, v18, v20
	v_add_f32_e32 v18, v18, v19
	v_cvt_i32_f32_e32 v19, v20
	v_cmp_ngt_f32_e32 vcc_lo, 0xc2ce8ed0, v17
	s_delay_alu instid0(VALU_DEP_3) | instskip(SKIP_1) | instid1(TRANS32_DEP_1)
	v_exp_f32_e32 v18, v18
	v_nop
	v_ldexp_f32 v18, v18, v19
	s_delay_alu instid0(VALU_DEP_1) | instskip(SKIP_1) | instid1(VALU_DEP_2)
	v_cndmask_b32_e32 v18, 0, v18, vcc_lo
	v_cmp_nlt_f32_e32 vcc_lo, 0x42b17218, v17
	v_cndmask_b32_e32 v17, 0x7f800000, v18, vcc_lo
	s_delay_alu instid0(VALU_DEP_1)
	v_cndmask_b32_e64 v17, 0, v17, s1
	ds_swizzle_b32 v18, v17 offset:swizzle(SWAP,1)
	s_wait_dscnt 0x0
	v_add_f32_e32 v18, v17, v18
	ds_swizzle_b32 v19, v18 offset:swizzle(SWAP,2)
	s_wait_dscnt 0x0
	v_add_f32_e32 v18, v18, v19
	;; [unrolled: 3-line block ×5, first 2 shown]
	s_delay_alu instid0(VALU_DEP_1) | instskip(NEXT) | instid1(VALU_DEP_1)
	v_div_scale_f32 v19, null, v18, v18, 1.0
	v_rcp_f32_e32 v20, v19
	v_nop
	s_delay_alu instid0(TRANS32_DEP_1) | instskip(NEXT) | instid1(VALU_DEP_1)
	v_fma_f32 v21, -v19, v20, 1.0
	v_fmac_f32_e32 v20, v21, v20
	v_div_scale_f32 v21, vcc_lo, 1.0, v18, 1.0
	s_delay_alu instid0(VALU_DEP_1) | instskip(NEXT) | instid1(VALU_DEP_1)
	v_mul_f32_e32 v22, v21, v20
	v_fma_f32 v23, -v19, v22, v21
	s_delay_alu instid0(VALU_DEP_1) | instskip(NEXT) | instid1(VALU_DEP_1)
	v_fmac_f32_e32 v22, v23, v20
	v_fma_f32 v19, -v19, v22, v21
	s_delay_alu instid0(VALU_DEP_1) | instskip(NEXT) | instid1(VALU_DEP_1)
	v_div_fmas_f32 v19, v19, v20, v22
	v_div_fixup_f32 v18, v19, v18, 1.0
	s_delay_alu instid0(VALU_DEP_1)
	v_mul_f32_e32 v17, v17, v18
	s_and_saveexec_b32 s25, s1
	s_cbranch_execz .LBB0_31
; %bb.28:                               ;   in Loop: Header=BB0_23 Depth=1
	s_and_not1_b32 vcc_lo, exec_lo, s38
	s_mov_b32 s26, 0
	s_cbranch_vccnz .LBB0_30
; %bb.29:                               ;   in Loop: Header=BB0_23 Depth=1
	v_lshrrev_b32_e32 v19, 2, v0
	v_add_nc_u32_e32 v15, 0x587c5, v15
	s_delay_alu instid0(VALU_DEP_2) | instskip(NEXT) | instid1(VALU_DEP_1)
	v_dual_lshlrev_b32 v19, 4, v13 :: v_dual_bitop2_b32 v0, v19, v0 bitop3:0x14
	v_lshlrev_b32_e32 v20, 1, v0
	s_delay_alu instid0(VALU_DEP_1) | instskip(NEXT) | instid1(VALU_DEP_1)
	v_xor_b32_e32 v19, v19, v20
	v_xor3_b32 v19, v19, v13, v0
	s_delay_alu instid0(VALU_DEP_1) | instskip(NEXT) | instid1(VALU_DEP_1)
	v_add_nc_u32_e32 v0, v19, v15
	v_cvt_f32_u32_e32 v0, v0
	s_delay_alu instid0(VALU_DEP_1) | instskip(SKIP_2) | instid1(VALU_DEP_3)
	v_fmaak_f32 v20, 0x2f800000, v0, 0x2f800000
	v_dual_mov_b32 v0, v1 :: v_dual_mov_b32 v1, v2
	v_dual_mov_b32 v2, v3 :: v_dual_mov_b32 v3, v13
	v_cmp_gt_f32_e32 vcc_lo, s33, v20
	v_mov_b32_e32 v13, v19
	s_and_b32 s26, vcc_lo, exec_lo
.LBB0_30:                               ;   in Loop: Header=BB0_23 Depth=1
	v_mul_f32_e32 v19, v4, v17
	v_add_nc_u64_e32 v[20:21], s[10:11], v[10:11]
	s_delay_alu instid0(VALU_DEP_2)
	v_cndmask_b32_e64 v19, v19, 0, s26
	global_store_b32 v[20:21], v19, off
.LBB0_31:                               ;   in Loop: Header=BB0_23 Depth=1
	s_wait_xcnt 0x0
	s_or_b32 exec_lo, exec_lo, s25
	s_and_saveexec_b32 s25, s22
	s_cbranch_execz .LBB0_22
; %bb.32:                               ;   in Loop: Header=BB0_23 Depth=1
	v_add_nc_u64_e32 v[20:21], s[4:5], v[8:9]
	v_add_nc_u64_e32 v[22:23], s[6:7], v[8:9]
	global_store_b32 v[20:21], v16, off
	global_store_b32 v[22:23], v18, off
	s_branch .LBB0_22
.LBB0_33:
	s_or_b32 exec_lo, exec_lo, s24
.LBB0_34:
	s_delay_alu instid0(SALU_CYCLE_1)
	s_or_b32 exec_lo, exec_lo, s20
	s_cmp_lg_u64 s[28:29], 0
	s_cbranch_scc0 .LBB0_43
; %bb.35:
	ds_swizzle_b32 v0, v5 offset:swizzle(SWAP,1)
	s_wait_dscnt 0x0
	v_dual_max_num_f32 v1, v5, v5 :: v_dual_max_num_f32 v0, v0, v0
	s_delay_alu instid0(VALU_DEP_1) | instskip(SKIP_3) | instid1(VALU_DEP_1)
	v_max_num_f32_e32 v0, v0, v1
	ds_swizzle_b32 v1, v0 offset:swizzle(SWAP,2)
	s_wait_dscnt 0x0
	v_max_num_f32_e32 v1, v1, v1
	v_max_num_f32_e32 v0, v1, v0
	ds_swizzle_b32 v1, v0 offset:swizzle(SWAP,4)
	s_wait_dscnt 0x0
	v_max_num_f32_e32 v1, v1, v1
	s_delay_alu instid0(VALU_DEP_1) | instskip(SKIP_3) | instid1(VALU_DEP_1)
	v_max_num_f32_e32 v0, v1, v0
	ds_swizzle_b32 v1, v0 offset:swizzle(SWAP,8)
	s_wait_dscnt 0x0
	v_max_num_f32_e32 v1, v1, v1
	v_max_num_f32_e32 v0, v1, v0
	ds_swizzle_b32 v1, v0 offset:swizzle(SWAP,16)
	s_and_saveexec_b32 s1, s0
	s_cbranch_execz .LBB0_37
; %bb.36:
	s_wait_dscnt 0x0
	v_dual_max_num_f32 v0, v0, v0 :: v_dual_max_num_f32 v1, v1, v1
	s_delay_alu instid0(VALU_DEP_1)
	v_dual_lshlrev_b32 v2, 2, v14 :: v_dual_max_num_f32 v0, v1, v0
	ds_store_b32 v2, v0
.LBB0_37:
	s_or_b32 exec_lo, exec_lo, s1
	s_delay_alu instid0(SALU_CYCLE_1)
	s_mov_b32 s0, exec_lo
	s_wait_storecnt_dscnt 0x0
	s_barrier_signal -1
	s_barrier_wait -1
	v_cmpx_gt_u32_e32 2, v12
	s_cbranch_execz .LBB0_40
; %bb.38:
	v_lshlrev_b32_e32 v0, 2, v12
	v_cmp_eq_u32_e32 vcc_lo, 0, v12
	ds_load_b32 v0, v0
	s_wait_dscnt 0x0
	ds_swizzle_b32 v1, v0 offset:swizzle(BITMASK_PERM,"0000i")
	s_and_b32 exec_lo, exec_lo, vcc_lo
	s_cbranch_execz .LBB0_40
; %bb.39:
	s_wait_dscnt 0x0
	v_dual_max_num_f32 v0, v0, v0 :: v_dual_max_num_f32 v1, v1, v1
	s_delay_alu instid0(VALU_DEP_1)
	v_dual_max_num_f32 v0, v1, v0 :: v_dual_mov_b32 v1, 0
	ds_store_b32 v1, v0
.LBB0_40:
	s_or_b32 exec_lo, exec_lo, s0
	s_wait_dscnt 0x0
	s_barrier_signal -1
	s_barrier_wait -1
	s_mov_b32 s0, exec_lo
	v_cmpx_eq_u32_e32 0, v12
	s_cbranch_execz .LBB0_43
; %bb.41:
	v_mbcnt_lo_u32_b32 v0, exec_lo, 0
	s_delay_alu instid0(VALU_DEP_1)
	v_cmp_eq_u32_e32 vcc_lo, 0, v0
	s_and_b32 exec_lo, exec_lo, vcc_lo
	s_cbranch_execz .LBB0_43
; %bb.42:
	v_mov_b32_e32 v0, 0
	ds_load_b32 v1, v0
	s_wait_dscnt 0x0
	global_atomic_max_i32 v0, v1, s[28:29] scope:SCOPE_DEV
.LBB0_43:
	s_endpgm
	.section	.rodata,"a",@progbits
	.p2align	6, 0x0
	.amdhsa_kernel SoftMaxWarp
		.amdhsa_group_segment_fixed_size 3080
		.amdhsa_private_segment_fixed_size 0
		.amdhsa_kernarg_size 368
		.amdhsa_user_sgpr_count 4
		.amdhsa_user_sgpr_dispatch_ptr 1
		.amdhsa_user_sgpr_queue_ptr 0
		.amdhsa_user_sgpr_kernarg_segment_ptr 1
		.amdhsa_user_sgpr_dispatch_id 0
		.amdhsa_user_sgpr_kernarg_preload_length 0
		.amdhsa_user_sgpr_kernarg_preload_offset 0
		.amdhsa_user_sgpr_private_segment_size 0
		.amdhsa_wavefront_size32 1
		.amdhsa_uses_dynamic_stack 0
		.amdhsa_enable_private_segment 0
		.amdhsa_system_sgpr_workgroup_id_x 1
		.amdhsa_system_sgpr_workgroup_id_y 0
		.amdhsa_system_sgpr_workgroup_id_z 0
		.amdhsa_system_sgpr_workgroup_info 0
		.amdhsa_system_vgpr_workitem_id 2
		.amdhsa_next_free_vgpr 29
		.amdhsa_next_free_sgpr 55
		.amdhsa_named_barrier_count 0
		.amdhsa_reserve_vcc 1
		.amdhsa_float_round_mode_32 0
		.amdhsa_float_round_mode_16_64 0
		.amdhsa_float_denorm_mode_32 3
		.amdhsa_float_denorm_mode_16_64 3
		.amdhsa_fp16_overflow 0
		.amdhsa_memory_ordered 1
		.amdhsa_forward_progress 1
		.amdhsa_inst_pref_size 22
		.amdhsa_round_robin_scheduling 0
		.amdhsa_exception_fp_ieee_invalid_op 0
		.amdhsa_exception_fp_denorm_src 0
		.amdhsa_exception_fp_ieee_div_zero 0
		.amdhsa_exception_fp_ieee_overflow 0
		.amdhsa_exception_fp_ieee_underflow 0
		.amdhsa_exception_fp_ieee_inexact 0
		.amdhsa_exception_int_div_zero 0
	.end_amdhsa_kernel
	.text
.Lfunc_end0:
	.size	SoftMaxWarp, .Lfunc_end0-SoftMaxWarp
                                        ; -- End function
	.set SoftMaxWarp.num_vgpr, 29
	.set SoftMaxWarp.num_agpr, 0
	.set SoftMaxWarp.numbered_sgpr, 55
	.set SoftMaxWarp.num_named_barrier, 0
	.set SoftMaxWarp.private_seg_size, 0
	.set SoftMaxWarp.uses_vcc, 1
	.set SoftMaxWarp.uses_flat_scratch, 0
	.set SoftMaxWarp.has_dyn_sized_stack, 0
	.set SoftMaxWarp.has_recursion, 0
	.set SoftMaxWarp.has_indirect_call, 0
	.section	.AMDGPU.csdata,"",@progbits
; Kernel info:
; codeLenInByte = 2744
; TotalNumSgprs: 57
; NumVgprs: 29
; ScratchSize: 0
; MemoryBound: 0
; FloatMode: 240
; IeeeMode: 1
; LDSByteSize: 3080 bytes/workgroup (compile time only)
; SGPRBlocks: 0
; VGPRBlocks: 1
; NumSGPRsForWavesPerEU: 57
; NumVGPRsForWavesPerEU: 29
; NamedBarCnt: 0
; Occupancy: 16
; WaveLimiterHint : 1
; COMPUTE_PGM_RSRC2:SCRATCH_EN: 0
; COMPUTE_PGM_RSRC2:USER_SGPR: 4
; COMPUTE_PGM_RSRC2:TRAP_HANDLER: 0
; COMPUTE_PGM_RSRC2:TGID_X_EN: 1
; COMPUTE_PGM_RSRC2:TGID_Y_EN: 0
; COMPUTE_PGM_RSRC2:TGID_Z_EN: 0
; COMPUTE_PGM_RSRC2:TIDIG_COMP_CNT: 2
	.text
	.protected	SoftMaxBlock            ; -- Begin function SoftMaxBlock
	.globl	SoftMaxBlock
	.p2align	8
	.type	SoftMaxBlock,@function
SoftMaxBlock:                           ; @SoftMaxBlock
; %bb.0:
	s_load_b128 s[8:11], s[2:3], 0x30
	s_mov_b32 s41, 1.0
	s_mov_b32 s43, 1.0
	s_wait_kmcnt 0x0
	s_cmp_eq_u64 s[8:9], 0
	s_cbranch_scc1 .LBB1_2
; %bb.1:
	s_load_b32 s43, s[8:9], 0x0
.LBB1_2:
	s_wait_xcnt 0x0
	s_clause 0x1
	s_load_b64 s[8:9], s[2:3], 0x58
	s_load_b128 s[4:7], s[2:3], 0x48
	s_cmp_eq_u64 s[10:11], 0
	s_cbranch_scc1 .LBB1_4
; %bb.3:
	s_load_b32 s41, s[10:11], 0x0
.LBB1_4:
	s_wait_xcnt 0x0
	s_load_b64 s[10:11], s[2:3], 0x40
	s_wait_kmcnt 0x0
	s_cmp_eq_u64 s[8:9], 0
	s_mov_b32 s33, 0
	s_cselect_b32 s12, -1, 0
	s_cmp_eq_u64 s[4:5], 0
	s_cselect_b32 s13, -1, 0
	s_delay_alu instid0(SALU_CYCLE_1) | instskip(SKIP_2) | instid1(SALU_CYCLE_1)
	s_or_b32 s12, s13, s12
	s_cmp_eq_u64 s[6:7], 0
	s_cselect_b32 s13, -1, 0
	s_or_b32 s12, s13, s12
	s_delay_alu instid0(SALU_CYCLE_1)
	s_and_b32 vcc_lo, exec_lo, s12
	s_cbranch_vccnz .LBB1_6
; %bb.5:
	s_load_b32 s33, s[8:9], 0x0
.LBB1_6:
	s_cmp_eq_u64 s[10:11], 0
	s_cbranch_scc1 .LBB1_8
; %bb.7:
	s_load_b32 s42, s[10:11], 0x0
	s_branch .LBB1_9
.LBB1_8:
	s_mov_b32 s42, 1.0
.LBB1_9:
	s_load_b64 s[28:29], s[2:3], 0x28
	s_wait_kmcnt 0x0
	s_cmp_gt_f32 s33, 0
	s_getreg_b32 s10, hwreg(HW_REG_IB_STS2, 6, 4)
	v_and_b32_e32 v8, 0x3ff, v0
	s_cselect_b32 s40, -1, 0
	s_bfe_u32 s8, ttmp6, 0x4000c
	s_and_b32 s9, ttmp6, 15
	s_add_co_i32 s8, s8, 1
	s_delay_alu instid0(SALU_CYCLE_1) | instskip(NEXT) | instid1(SALU_CYCLE_1)
	s_mul_i32 s8, ttmp9, s8
	s_add_co_i32 s9, s9, s8
	s_cmp_eq_u32 s10, 0
	s_cselect_b32 s30, ttmp9, s9
	s_cmp_ngt_f32 s33, 0
	s_cbranch_scc1 .LBB1_18
; %bb.10:
	s_load_b32 s10, s[2:3], 0x7c
	s_load_b64 s[8:9], s[4:5], 0x0
	v_mov_b32_e32 v3, 0
	v_bfe_u32 v1, v0, 10, 10
	v_bfe_u32 v0, v0, 20, 10
	s_wait_kmcnt 0x0
	s_and_b32 s4, s10, 0xffff
	s_delay_alu instid0(SALU_CYCLE_1) | instskip(SKIP_1) | instid1(VALU_DEP_1)
	v_mad_u32 v2, s30, s4, v8
	s_load_b64 s[4:5], s[0:1], 0x4
	v_add_nc_u64_e32 v[2:3], s[8:9], v[2:3]
	s_wait_xcnt 0x0
	s_load_b64 s[0:1], s[6:7], 0x0
	s_delay_alu instid0(VALU_DEP_1) | instskip(SKIP_4) | instid1(SALU_CYCLE_1)
	v_lshrrev_b64 v[4:5], 30, v[2:3]
	s_wait_kmcnt 0x0
	s_lshr_b32 s4, s4, 16
	v_mul_u32_u24_e32 v1, s5, v1
	s_mul_i32 s4, s4, s5
	v_mul_u32_u24_e32 v6, s4, v8
	s_delay_alu instid0(VALU_DEP_3) | instskip(SKIP_1) | instid1(VALU_DEP_3)
	v_xor_b32_e32 v3, v5, v3
	v_xor_b32_e32 v2, v4, v2
	v_add3_u32 v0, v6, v1, v0
	s_delay_alu instid0(VALU_DEP_2) | instskip(SKIP_1) | instid1(VALU_DEP_2)
	v_mul_u64_e32 v[2:3], 0xbf58476d1ce4e5b9, v[2:3]
	s_cmp_eq_u64 s[0:1], 0
	v_mul_lo_u32 v6, v0, 48
	s_delay_alu instid0(VALU_DEP_2) | instskip(NEXT) | instid1(VALU_DEP_1)
	v_lshrrev_b64 v[4:5], 27, v[2:3]
	v_xor_b32_e32 v3, v5, v3
	s_delay_alu instid0(VALU_DEP_2) | instskip(NEXT) | instid1(VALU_DEP_1)
	v_xor_b32_e32 v2, v4, v2
	v_mul_u64_e32 v[2:3], 0x94d049bb133111eb, v[2:3]
	s_delay_alu instid0(VALU_DEP_1) | instskip(NEXT) | instid1(VALU_DEP_1)
	v_lshrrev_b64 v[4:5], 31, v[2:3]
	v_xor_b32_e32 v2, v4, v2
	s_delay_alu instid0(VALU_DEP_2) | instskip(NEXT) | instid1(VALU_DEP_2)
	v_xor_b32_e32 v3, v5, v3
	v_xor_b32_e32 v2, 0x2c7f967f, v2
	s_delay_alu instid0(VALU_DEP_2) | instskip(NEXT) | instid1(VALU_DEP_2)
	v_xor_b32_e32 v3, 0xa03697cb, v3
	v_mul_lo_u32 v4, 0x493c4aa1, v2
	s_delay_alu instid0(VALU_DEP_2) | instskip(NEXT) | instid1(VALU_DEP_2)
	v_mul_lo_u32 v5, 0x7b99840d, v3
	v_add_nc_u32_e32 v0, 0x75bcd15, v4
	v_xor_b32_e32 v1, 0x159a55e5, v4
	s_delay_alu instid0(VALU_DEP_3)
	v_add_nc_u32_e32 v2, 0x1f123bb5, v5
	v_xor_b32_e32 v3, 0x5491333, v5
	v_add_nc_u32_e32 v9, 0x583f19, v4
	ds_store_2addr_b64 v6, v[0:1], v[2:3] offset0:4 offset1:5
	ds_store_b32 v6, v9 offset:48
	s_cbranch_scc1 .LBB1_19
; %bb.11:
	v_or_b32_e32 v6, 8, v6
	s_mov_b64 s[36:37], s[0:1]
	s_get_pc_i64 s[34:35]
	s_add_nc_u64 s[34:35], s[34:35], _ZL22d_xorwow_jump_matrices@rel64+4
	s_branch .LBB1_13
.LBB1_12:                               ;   in Loop: Header=BB1_13 Depth=1
	v_cmp_lt_u64_e64 s1, s[36:37], 4
	s_lshr_b64 s[36:37], s[36:37], 2
	s_add_nc_u64 s[34:35], s[34:35], 0xc80
	s_and_b32 vcc_lo, exec_lo, s1
	s_cbranch_vccnz .LBB1_19
.LBB1_13:                               ; =>This Loop Header: Depth=1
                                        ;     Child Loop BB1_15 Depth 2
                                        ;       Child Loop BB1_16 Depth 3
	s_and_b32 s1, s36, 3
	s_delay_alu instid0(SALU_CYCLE_1)
	s_cmp_eq_u32 s1, 0
	s_cbranch_scc1 .LBB1_12
; %bb.14:                               ;   in Loop: Header=BB1_13 Depth=1
	s_mov_b32 s31, 0
.LBB1_15:                               ;   Parent Loop BB1_13 Depth=1
                                        ; =>  This Loop Header: Depth=2
                                        ;       Child Loop BB1_16 Depth 3
	v_dual_mov_b32 v0, 0 :: v_dual_mov_b32 v1, 0
	v_dual_mov_b32 v2, 0 :: v_dual_mov_b32 v3, 0
	v_mov_b32_e32 v9, 0
	s_mov_b32 s44, 4
	s_mov_b64 s[38:39], s[34:35]
.LBB1_16:                               ;   Parent Loop BB1_13 Depth=1
                                        ;     Parent Loop BB1_15 Depth=2
                                        ; =>    This Inner Loop Header: Depth=3
	s_add_co_i32 s45, s44, -4
	s_add_co_i32 s46, s44, -3
	s_add_co_i32 s47, s44, -2
	s_lshr_b32 s50, s44, 3
	s_lshr_b32 s51, s45, 3
	s_add_co_i32 s48, s44, -1
	s_lshr_b32 s52, s46, 3
	s_lshr_b32 s53, s47, 3
	s_and_b32 s50, s50, 0x1ffffffc
	s_and_b32 s51, s51, 0x1ffffffc
	s_lshr_b32 s54, s48, 3
	s_and_b32 s52, s52, 0x1ffffffc
	s_and_b32 s53, s53, 0x1ffffffc
	v_dual_add_nc_u32 v7, s50, v6 :: v_dual_add_nc_u32 v10, s51, v6
	s_and_b32 s54, s54, 0x1ffffffc
	v_dual_add_nc_u32 v11, s52, v6 :: v_dual_add_nc_u32 v12, s53, v6
	v_add_nc_u32_e32 v13, s54, v6
	s_clause 0x2
	s_load_b512 s[4:19], s[38:39], 0x0
	s_load_b32 s49, s[38:39], 0x60
	s_load_b256 s[20:27], s[38:39], 0x40
	ds_load_b32 v10, v10 offset:24
	ds_load_b32 v11, v11 offset:24
	;; [unrolled: 1-line block ×5, first 2 shown]
	s_wait_xcnt 0x0
	s_add_nc_u64 s[38:39], s[38:39], 0x64
	s_wait_dscnt 0x3
	v_dual_lshrrev_b32 v10, s45, v10 :: v_dual_lshrrev_b32 v11, s46, v11
	s_wait_dscnt 0x1
	v_dual_lshrrev_b32 v12, s47, v12 :: v_dual_lshrrev_b32 v13, s48, v13
	s_wait_dscnt 0x0
	v_lshrrev_b32_e32 v7, s44, v7
	v_bfe_i32 v10, v10, 0, 1
	v_bfe_i32 v11, v11, 0, 1
	;; [unrolled: 1-line block ×5, first 2 shown]
	s_wait_kmcnt 0x0
	v_bitop3_b32 v0, v10, v0, s4 bitop3:0x6c
	v_bitop3_b32 v1, v10, v1, s5 bitop3:0x6c
	;; [unrolled: 1-line block ×5, first 2 shown]
	v_and_b32_e32 v10, s9, v11
	v_and_b32_e32 v14, s10, v11
	;; [unrolled: 1-line block ×20, first 2 shown]
	v_xor3_b32 v0, v10, v0, v17
	v_xor3_b32 v1, v14, v1, v18
	;; [unrolled: 1-line block ×10, first 2 shown]
	s_add_co_i32 s44, s44, 5
	s_delay_alu instid0(SALU_CYCLE_1)
	s_cmp_lg_u32 s44, 0xa4
	s_cbranch_scc1 .LBB1_16
; %bb.17:                               ;   in Loop: Header=BB1_15 Depth=2
	s_add_co_i32 s31, s31, 1
	ds_store_2addr_b64 v6, v[0:1], v[2:3] offset0:3 offset1:4
	ds_store_b32 v6, v9 offset:40
	s_cmp_eq_u32 s31, s1
	s_cbranch_scc0 .LBB1_15
	s_branch .LBB1_12
.LBB1_18:
	v_mov_b32_e32 v9, 0x5ada9af8
	v_mov_b32_e32 v3, 0x8f14727c
	;; [unrolled: 1-line block ×6, first 2 shown]
	s_branch .LBB1_20
.LBB1_19:
	s_mul_i32 s0, s0, 0x587c5
	s_delay_alu instid0(SALU_CYCLE_1) | instskip(NEXT) | instid1(SALU_CYCLE_1)
	s_add_co_i32 s0, s0, 0x64f0c9
	v_add3_u32 v10, s0, v4, v5
.LBB1_20:
	s_clause 0x2
	s_load_b128 s[8:11], s[2:3], 0x10
	s_load_b64 s[6:7], s[2:3], 0x20
	s_load_b64 s[16:17], s[2:3], 0x68
	s_mov_b32 s31, 0
	v_dual_lshrrev_b32 v11, 5, v8 :: v_dual_bitop2_b32 v12, 31, v8 bitop3:0x40
	v_cmp_eq_u32_e64 s0, 0, v8
	v_mov_b32_e32 v14, 0
	s_delay_alu instid0(VALU_DEP_3)
	v_cmp_eq_u32_e64 s1, 0, v12
	s_wait_kmcnt 0x0
	v_cmp_le_u64_e64 s4, s[16:17], s[30:31]
	s_and_b32 vcc_lo, exec_lo, s4
	v_cmp_gt_u32_e64 s4, 2, v8
	s_cbranch_vccnz .LBB1_43
; %bb.21:
	s_sub_f32 s24, 1.0, s33
	s_clause 0x2
	s_load_b32 s20, s[2:3], 0x60
	s_load_b128 s[12:15], s[2:3], 0x0
	s_load_b32 s18, s[2:3], 0x70
	s_cmp_lg_u64 s[8:9], 0
	s_mov_b32 s21, s31
	v_div_scale_f32 v4, null, s24, s24, s42
	v_div_scale_f32 v14, vcc_lo, s42, s24, s42
	s_wait_xcnt 0x0
	s_cselect_b32 s2, -1, 0
	s_delay_alu instid0(VALU_DEP_2)
	v_rcp_f32_e32 v6, v4
	v_xor_b32_e32 v7, 0x80000000, v4
	s_cmp_lg_u64 s[10:11], 0
	s_mov_b32 s19, s31
	s_cselect_b32 s3, -1, 0
	s_mul_f32 s5, s43, s41
	s_and_b32 s2, s2, s3
	v_fma_f32 v4, v7, v6, 1.0
	s_and_b32 s3, s0, s2
	s_cmp_lg_u64 s[6:7], 0
	s_wait_kmcnt 0x0
	s_mul_u64 s[22:23], s[30:31], s[20:21]
	v_cmp_gt_u32_e64 s2, s20, v8
	v_dual_fmac_f32 v6, v4, v6 :: v_dual_lshlrev_b32 v13, 2, v11
	v_lshlrev_b32_e32 v4, 2, v8
	s_mul_u64 s[20:21], s[18:19], s[20:21]
	s_cselect_b32 s26, -1, 0
	s_delay_alu instid0(VALU_DEP_2) | instskip(SKIP_1) | instid1(VALU_DEP_1)
	v_mul_f32_e32 v15, v14, v6
	s_lshl_b64 s[20:21], s[20:21], 2
	v_dual_mov_b32 v5, 0 :: v_dual_fma_f32 v16, v7, v15, v14
	s_delay_alu instid0(VALU_DEP_1) | instskip(NEXT) | instid1(VALU_DEP_1)
	v_fmac_f32_e32 v15, v16, v6
	v_fmac_f32_e32 v14, v7, v15
	s_delay_alu instid0(VALU_DEP_1) | instskip(NEXT) | instid1(VALU_DEP_4)
	v_div_fmas_f32 v14, v14, v6, v15
	v_lshl_add_u64 v[6:7], s[22:23], 2, v[4:5]
	s_lshl_b64 s[22:23], s[30:31], 2
	s_delay_alu instid0(VALU_DEP_2)
	v_div_fixup_f32 v15, v14, s24, s42
	v_mov_b32_e32 v14, 0
	s_lshl_b64 s[24:25], s[18:19], 2
	s_branch .LBB1_23
.LBB1_22:                               ;   in Loop: Header=BB1_23 Depth=1
	s_wait_xcnt 0x0
	s_or_b32 exec_lo, exec_lo, s27
	s_add_nc_u64 s[30:31], s[30:31], s[18:19]
	v_dual_max_num_f32 v16, v17, v17 :: v_dual_max_num_f32 v14, v14, v14
	v_cmp_ge_u64_e64 s27, s[30:31], s[16:17]
	v_add_nc_u64_e32 v[6:7], s[20:21], v[6:7]
	s_add_nc_u64 s[22:23], s[22:23], s[24:25]
	v_max_num_f32_e32 v14, v14, v16
	s_and_b32 vcc_lo, exec_lo, s27
	s_cbranch_vccnz .LBB1_43
.LBB1_23:                               ; =>This Inner Loop Header: Depth=1
	v_mov_b32_e32 v17, 0xff7fffff
	s_and_saveexec_b32 s27, s2
	s_cbranch_execz .LBB1_25
; %bb.24:                               ;   in Loop: Header=BB1_23 Depth=1
	v_add_nc_u64_e32 v[16:17], s[12:13], v[6:7]
	global_load_b32 v16, v[16:17], off
	s_wait_loadcnt 0x0
	s_wait_xcnt 0x0
	v_mul_f32_e32 v17, s5, v16
.LBB1_25:                               ;   in Loop: Header=BB1_23 Depth=1
	s_or_b32 exec_lo, exec_lo, s27
	s_delay_alu instid0(SALU_CYCLE_1)
	s_and_not1_b32 vcc_lo, exec_lo, s26
	s_cbranch_vccnz .LBB1_27
; %bb.26:                               ;   in Loop: Header=BB1_23 Depth=1
	v_add_nc_u64_e32 v[18:19], s[6:7], v[6:7]
	global_load_b32 v16, v[18:19], off
	s_wait_loadcnt 0x0
	v_sub_f32_e32 v17, v17, v16
.LBB1_27:                               ;   in Loop: Header=BB1_23 Depth=1
	ds_swizzle_b32 v16, v17 offset:swizzle(SWAP,1)
	s_wait_dscnt 0x0
	s_wait_xcnt 0x0
	v_dual_max_num_f32 v18, v17, v17 :: v_dual_max_num_f32 v16, v16, v16
	s_delay_alu instid0(VALU_DEP_1) | instskip(SKIP_3) | instid1(VALU_DEP_1)
	v_max_num_f32_e32 v16, v16, v18
	ds_swizzle_b32 v18, v16 offset:swizzle(SWAP,2)
	s_wait_dscnt 0x0
	v_max_num_f32_e32 v18, v18, v18
	v_max_num_f32_e32 v16, v18, v16
	ds_swizzle_b32 v18, v16 offset:swizzle(SWAP,4)
	s_wait_dscnt 0x0
	v_max_num_f32_e32 v18, v18, v18
	s_delay_alu instid0(VALU_DEP_1) | instskip(SKIP_3) | instid1(VALU_DEP_1)
	v_max_num_f32_e32 v16, v18, v16
	ds_swizzle_b32 v18, v16 offset:swizzle(SWAP,8)
	s_wait_dscnt 0x0
	v_max_num_f32_e32 v18, v18, v18
	v_max_num_f32_e32 v16, v18, v16
	ds_swizzle_b32 v18, v16 offset:swizzle(SWAP,16)
	s_and_saveexec_b32 s27, s1
	s_cbranch_execz .LBB1_29
; %bb.28:                               ;   in Loop: Header=BB1_23 Depth=1
	s_wait_dscnt 0x0
	v_dual_max_num_f32 v16, v16, v16 :: v_dual_max_num_f32 v18, v18, v18
	s_delay_alu instid0(VALU_DEP_1)
	v_max_num_f32_e32 v16, v18, v16
	ds_store_b32 v13, v16
.LBB1_29:                               ;   in Loop: Header=BB1_23 Depth=1
	s_or_b32 exec_lo, exec_lo, s27
	s_wait_dscnt 0x0
	s_barrier_signal -1
	s_barrier_wait -1
	s_and_saveexec_b32 s27, s4
	s_cbranch_execz .LBB1_32
; %bb.30:                               ;   in Loop: Header=BB1_23 Depth=1
	ds_load_b32 v16, v4
	s_wait_dscnt 0x0
	ds_swizzle_b32 v18, v16 offset:swizzle(BITMASK_PERM,"0000i")
	s_and_b32 exec_lo, exec_lo, s0
	s_cbranch_execz .LBB1_32
; %bb.31:                               ;   in Loop: Header=BB1_23 Depth=1
	s_wait_dscnt 0x0
	v_dual_max_num_f32 v16, v16, v16 :: v_dual_max_num_f32 v18, v18, v18
	s_delay_alu instid0(VALU_DEP_1)
	v_max_num_f32_e32 v16, v18, v16
	ds_store_b32 v5, v16
.LBB1_32:                               ;   in Loop: Header=BB1_23 Depth=1
	s_or_b32 exec_lo, exec_lo, s27
	s_wait_dscnt 0x0
	s_barrier_signal -1
	s_barrier_wait -1
	ds_load_b32 v16, v5
	s_wait_dscnt 0x0
	v_sub_f32_e32 v17, v17, v16
	s_delay_alu instid0(VALU_DEP_1) | instskip(NEXT) | instid1(VALU_DEP_1)
	v_mul_f32_e32 v18, 0x3fb8aa3b, v17
	v_fma_f32 v19, 0x3fb8aa3b, v17, -v18
	v_rndne_f32_e32 v20, v18
	s_delay_alu instid0(VALU_DEP_1) | instskip(NEXT) | instid1(VALU_DEP_1)
	v_dual_fmac_f32 v19, 0x32a5705f, v17 :: v_dual_sub_f32 v18, v18, v20
	v_add_f32_e32 v18, v18, v19
	v_cvt_i32_f32_e32 v19, v20
	v_cmp_ngt_f32_e32 vcc_lo, 0xc2ce8ed0, v17
	s_delay_alu instid0(VALU_DEP_3) | instskip(SKIP_1) | instid1(TRANS32_DEP_1)
	v_exp_f32_e32 v18, v18
	v_nop
	v_ldexp_f32 v18, v18, v19
	s_delay_alu instid0(VALU_DEP_1) | instskip(SKIP_1) | instid1(VALU_DEP_2)
	v_cndmask_b32_e32 v18, 0, v18, vcc_lo
	v_cmp_nlt_f32_e32 vcc_lo, 0x42b17218, v17
	v_cndmask_b32_e32 v17, 0x7f800000, v18, vcc_lo
	s_delay_alu instid0(VALU_DEP_1)
	v_cndmask_b32_e64 v17, 0, v17, s2
	ds_swizzle_b32 v18, v17 offset:swizzle(SWAP,1)
	s_wait_dscnt 0x0
	v_add_f32_e32 v18, v17, v18
	ds_swizzle_b32 v19, v18 offset:swizzle(SWAP,2)
	s_wait_dscnt 0x0
	v_add_f32_e32 v18, v18, v19
	;; [unrolled: 3-line block ×4, first 2 shown]
	ds_swizzle_b32 v19, v18 offset:swizzle(SWAP,16)
	s_and_saveexec_b32 s27, s1
	s_cbranch_execz .LBB1_34
; %bb.33:                               ;   in Loop: Header=BB1_23 Depth=1
	s_wait_dscnt 0x0
	v_add_f32_e32 v18, v18, v19
	ds_store_b32 v13, v18
.LBB1_34:                               ;   in Loop: Header=BB1_23 Depth=1
	s_or_b32 exec_lo, exec_lo, s27
	s_wait_dscnt 0x0
	s_barrier_signal -1
	s_barrier_wait -1
	s_and_saveexec_b32 s27, s4
	s_cbranch_execz .LBB1_37
; %bb.35:                               ;   in Loop: Header=BB1_23 Depth=1
	ds_load_b32 v18, v4
	s_wait_dscnt 0x0
	ds_swizzle_b32 v19, v18 offset:swizzle(BITMASK_PERM,"0000i")
	s_and_b32 exec_lo, exec_lo, s0
	s_cbranch_execz .LBB1_37
; %bb.36:                               ;   in Loop: Header=BB1_23 Depth=1
	s_wait_dscnt 0x0
	v_add_f32_e32 v18, v18, v19
	ds_store_b32 v5, v18
.LBB1_37:                               ;   in Loop: Header=BB1_23 Depth=1
	s_or_b32 exec_lo, exec_lo, s27
	s_wait_dscnt 0x0
	s_barrier_signal -1
	s_barrier_wait -1
	ds_load_b32 v18, v5
	s_wait_dscnt 0x0
	v_div_scale_f32 v19, null, v18, v18, 1.0
	s_delay_alu instid0(VALU_DEP_1)
	v_rcp_f32_e32 v20, v19
	v_nop
	v_xor_b32_e32 v19, 0x80000000, v19
	s_delay_alu instid0(TRANS32_DEP_1) | instid1(VALU_DEP_1)
	v_fma_f32 v21, v19, v20, 1.0
	s_delay_alu instid0(VALU_DEP_1) | instskip(SKIP_1) | instid1(VALU_DEP_1)
	v_fmac_f32_e32 v20, v21, v20
	v_div_scale_f32 v21, vcc_lo, 1.0, v18, 1.0
	v_mul_f32_e32 v22, v21, v20
	s_delay_alu instid0(VALU_DEP_1) | instskip(NEXT) | instid1(VALU_DEP_1)
	v_fma_f32 v23, v19, v22, v21
	v_fmac_f32_e32 v22, v23, v20
	s_delay_alu instid0(VALU_DEP_1) | instskip(NEXT) | instid1(VALU_DEP_1)
	v_fmac_f32_e32 v21, v19, v22
	v_div_fmas_f32 v19, v21, v20, v22
	s_delay_alu instid0(VALU_DEP_1) | instskip(NEXT) | instid1(VALU_DEP_1)
	v_div_fixup_f32 v18, v19, v18, 1.0
	v_mul_f32_e32 v17, v17, v18
	s_and_saveexec_b32 s27, s2
	s_cbranch_execz .LBB1_41
; %bb.38:                               ;   in Loop: Header=BB1_23 Depth=1
	s_and_not1_b32 vcc_lo, exec_lo, s40
	s_mov_b32 s34, 0
	s_cbranch_vccnz .LBB1_40
; %bb.39:                               ;   in Loop: Header=BB1_23 Depth=1
	v_lshrrev_b32_e32 v19, 2, v0
	v_add_nc_u32_e32 v10, 0x587c5, v10
	s_delay_alu instid0(VALU_DEP_2) | instskip(NEXT) | instid1(VALU_DEP_1)
	v_dual_lshlrev_b32 v19, 4, v9 :: v_dual_bitop2_b32 v0, v19, v0 bitop3:0x14
	v_lshlrev_b32_e32 v20, 1, v0
	s_delay_alu instid0(VALU_DEP_1) | instskip(NEXT) | instid1(VALU_DEP_1)
	v_xor_b32_e32 v19, v19, v20
	v_xor3_b32 v19, v19, v9, v0
	s_delay_alu instid0(VALU_DEP_1) | instskip(NEXT) | instid1(VALU_DEP_1)
	v_add_nc_u32_e32 v0, v19, v10
	v_cvt_f32_u32_e32 v0, v0
	s_delay_alu instid0(VALU_DEP_1) | instskip(SKIP_3) | instid1(VALU_DEP_4)
	v_fmaak_f32 v20, 0x2f800000, v0, 0x2f800000
	v_dual_mov_b32 v0, v1 :: v_dual_mov_b32 v1, v2
	v_dual_mov_b32 v2, v3 :: v_dual_mov_b32 v3, v9
	v_mov_b32_e32 v9, v19
	v_cmp_gt_f32_e32 vcc_lo, s33, v20
	s_and_b32 s34, vcc_lo, exec_lo
.LBB1_40:                               ;   in Loop: Header=BB1_23 Depth=1
	v_mul_f32_e32 v19, v15, v17
	v_add_nc_u64_e32 v[20:21], s[14:15], v[6:7]
	s_delay_alu instid0(VALU_DEP_2)
	v_cndmask_b32_e64 v19, v19, 0, s34
	global_store_b32 v[20:21], v19, off
.LBB1_41:                               ;   in Loop: Header=BB1_23 Depth=1
	s_wait_xcnt 0x0
	s_or_b32 exec_lo, exec_lo, s27
	s_and_saveexec_b32 s27, s3
	s_cbranch_execz .LBB1_22
; %bb.42:                               ;   in Loop: Header=BB1_23 Depth=1
	s_add_nc_u64 s[34:35], s[8:9], s[22:23]
	s_add_nc_u64 s[36:37], s[10:11], s[22:23]
	s_clause 0x1
	global_store_b32 v5, v16, s[34:35]
	global_store_b32 v5, v18, s[36:37]
	s_branch .LBB1_22
.LBB1_43:
	s_cmp_lg_u64 s[28:29], 0
	s_cbranch_scc0 .LBB1_52
; %bb.44:
	ds_swizzle_b32 v0, v14 offset:swizzle(SWAP,1)
	v_max_num_f32_e32 v1, v14, v14
	s_mov_b32 s1, exec_lo
	s_wait_dscnt 0x0
	v_max_num_f32_e32 v0, v0, v0
	s_delay_alu instid0(VALU_DEP_1) | instskip(SKIP_3) | instid1(VALU_DEP_1)
	v_max_num_f32_e32 v0, v0, v1
	ds_swizzle_b32 v1, v0 offset:swizzle(SWAP,2)
	s_wait_dscnt 0x0
	v_max_num_f32_e32 v1, v1, v1
	v_max_num_f32_e32 v0, v1, v0
	ds_swizzle_b32 v1, v0 offset:swizzle(SWAP,4)
	s_wait_dscnt 0x0
	v_max_num_f32_e32 v1, v1, v1
	s_delay_alu instid0(VALU_DEP_1) | instskip(SKIP_3) | instid1(VALU_DEP_1)
	v_max_num_f32_e32 v0, v1, v0
	ds_swizzle_b32 v1, v0 offset:swizzle(SWAP,8)
	s_wait_dscnt 0x0
	v_max_num_f32_e32 v1, v1, v1
	v_max_num_f32_e32 v0, v1, v0
	ds_swizzle_b32 v1, v0 offset:swizzle(SWAP,16)
	v_cmpx_eq_u32_e32 0, v12
	s_cbranch_execz .LBB1_46
; %bb.45:
	s_wait_dscnt 0x0
	v_dual_max_num_f32 v0, v0, v0 :: v_dual_max_num_f32 v1, v1, v1
	s_delay_alu instid0(VALU_DEP_1)
	v_dual_lshlrev_b32 v2, 2, v11 :: v_dual_max_num_f32 v0, v1, v0
	ds_store_b32 v2, v0
.LBB1_46:
	s_or_b32 exec_lo, exec_lo, s1
	s_delay_alu instid0(SALU_CYCLE_1)
	s_mov_b32 s1, exec_lo
	s_wait_storecnt_dscnt 0x0
	s_barrier_signal -1
	s_barrier_wait -1
	v_cmpx_gt_u32_e32 2, v8
	s_cbranch_execz .LBB1_49
; %bb.47:
	v_lshlrev_b32_e32 v0, 2, v8
	ds_load_b32 v0, v0
	s_wait_dscnt 0x0
	ds_swizzle_b32 v1, v0 offset:swizzle(BITMASK_PERM,"0000i")
	s_and_b32 exec_lo, exec_lo, s0
	s_cbranch_execz .LBB1_49
; %bb.48:
	s_wait_dscnt 0x0
	v_dual_max_num_f32 v0, v0, v0 :: v_dual_max_num_f32 v1, v1, v1
	s_delay_alu instid0(VALU_DEP_1)
	v_dual_max_num_f32 v0, v1, v0 :: v_dual_mov_b32 v1, 0
	ds_store_b32 v1, v0
.LBB1_49:
	s_or_b32 exec_lo, exec_lo, s1
	s_wait_dscnt 0x0
	s_barrier_signal -1
	s_barrier_wait -1
	s_and_saveexec_b32 s1, s0
	s_cbranch_execz .LBB1_52
; %bb.50:
	v_mbcnt_lo_u32_b32 v0, exec_lo, 0
	s_delay_alu instid0(VALU_DEP_1)
	v_cmp_eq_u32_e32 vcc_lo, 0, v0
	s_and_b32 exec_lo, exec_lo, vcc_lo
	s_cbranch_execz .LBB1_52
; %bb.51:
	v_mov_b32_e32 v0, 0
	ds_load_b32 v1, v0
	s_wait_dscnt 0x0
	global_atomic_max_i32 v0, v1, s[28:29] scope:SCOPE_DEV
.LBB1_52:
	s_endpgm
	.section	.rodata,"a",@progbits
	.p2align	6, 0x0
	.amdhsa_kernel SoftMaxBlock
		.amdhsa_group_segment_fixed_size 3080
		.amdhsa_private_segment_fixed_size 0
		.amdhsa_kernarg_size 368
		.amdhsa_user_sgpr_count 4
		.amdhsa_user_sgpr_dispatch_ptr 1
		.amdhsa_user_sgpr_queue_ptr 0
		.amdhsa_user_sgpr_kernarg_segment_ptr 1
		.amdhsa_user_sgpr_dispatch_id 0
		.amdhsa_user_sgpr_kernarg_preload_length 0
		.amdhsa_user_sgpr_kernarg_preload_offset 0
		.amdhsa_user_sgpr_private_segment_size 0
		.amdhsa_wavefront_size32 1
		.amdhsa_uses_dynamic_stack 0
		.amdhsa_enable_private_segment 0
		.amdhsa_system_sgpr_workgroup_id_x 1
		.amdhsa_system_sgpr_workgroup_id_y 0
		.amdhsa_system_sgpr_workgroup_id_z 0
		.amdhsa_system_sgpr_workgroup_info 0
		.amdhsa_system_vgpr_workitem_id 2
		.amdhsa_next_free_vgpr 29
		.amdhsa_next_free_sgpr 55
		.amdhsa_named_barrier_count 0
		.amdhsa_reserve_vcc 1
		.amdhsa_float_round_mode_32 0
		.amdhsa_float_round_mode_16_64 0
		.amdhsa_float_denorm_mode_32 3
		.amdhsa_float_denorm_mode_16_64 3
		.amdhsa_fp16_overflow 0
		.amdhsa_memory_ordered 1
		.amdhsa_forward_progress 1
		.amdhsa_inst_pref_size 24
		.amdhsa_round_robin_scheduling 0
		.amdhsa_exception_fp_ieee_invalid_op 0
		.amdhsa_exception_fp_denorm_src 0
		.amdhsa_exception_fp_ieee_div_zero 0
		.amdhsa_exception_fp_ieee_overflow 0
		.amdhsa_exception_fp_ieee_underflow 0
		.amdhsa_exception_fp_ieee_inexact 0
		.amdhsa_exception_int_div_zero 0
	.end_amdhsa_kernel
	.text
.Lfunc_end1:
	.size	SoftMaxBlock, .Lfunc_end1-SoftMaxBlock
                                        ; -- End function
	.set SoftMaxBlock.num_vgpr, 29
	.set SoftMaxBlock.num_agpr, 0
	.set SoftMaxBlock.numbered_sgpr, 55
	.set SoftMaxBlock.num_named_barrier, 0
	.set SoftMaxBlock.private_seg_size, 0
	.set SoftMaxBlock.uses_vcc, 1
	.set SoftMaxBlock.uses_flat_scratch, 0
	.set SoftMaxBlock.has_dyn_sized_stack, 0
	.set SoftMaxBlock.has_recursion, 0
	.set SoftMaxBlock.has_indirect_call, 0
	.section	.AMDGPU.csdata,"",@progbits
; Kernel info:
; codeLenInByte = 2980
; TotalNumSgprs: 57
; NumVgprs: 29
; ScratchSize: 0
; MemoryBound: 0
; FloatMode: 240
; IeeeMode: 1
; LDSByteSize: 3080 bytes/workgroup (compile time only)
; SGPRBlocks: 0
; VGPRBlocks: 1
; NumSGPRsForWavesPerEU: 57
; NumVGPRsForWavesPerEU: 29
; NamedBarCnt: 0
; Occupancy: 16
; WaveLimiterHint : 1
; COMPUTE_PGM_RSRC2:SCRATCH_EN: 0
; COMPUTE_PGM_RSRC2:USER_SGPR: 4
; COMPUTE_PGM_RSRC2:TRAP_HANDLER: 0
; COMPUTE_PGM_RSRC2:TGID_X_EN: 1
; COMPUTE_PGM_RSRC2:TGID_Y_EN: 0
; COMPUTE_PGM_RSRC2:TGID_Z_EN: 0
; COMPUTE_PGM_RSRC2:TIDIG_COMP_CNT: 2
	.text
	.protected	SoftMaxCommon           ; -- Begin function SoftMaxCommon
	.globl	SoftMaxCommon
	.p2align	8
	.type	SoftMaxCommon,@function
SoftMaxCommon:                          ; @SoftMaxCommon
; %bb.0:
	s_load_b128 s[8:11], s[2:3], 0x30
	s_mov_b32 s41, 1.0
	s_mov_b32 s42, 1.0
	s_wait_kmcnt 0x0
	s_cmp_eq_u64 s[8:9], 0
	s_cbranch_scc1 .LBB2_2
; %bb.1:
	s_load_b32 s42, s[8:9], 0x0
.LBB2_2:
	s_wait_xcnt 0x0
	s_clause 0x1
	s_load_b64 s[8:9], s[2:3], 0x58
	s_load_b128 s[4:7], s[2:3], 0x48
	s_cmp_eq_u64 s[10:11], 0
	s_cbranch_scc1 .LBB2_4
; %bb.3:
	s_load_b32 s41, s[10:11], 0x0
.LBB2_4:
	s_wait_xcnt 0x0
	s_load_b64 s[10:11], s[2:3], 0x40
	s_wait_kmcnt 0x0
	s_cmp_eq_u64 s[8:9], 0
	s_mov_b32 s33, 0
	s_cselect_b32 s12, -1, 0
	s_cmp_eq_u64 s[4:5], 0
	s_cselect_b32 s13, -1, 0
	s_delay_alu instid0(SALU_CYCLE_1) | instskip(SKIP_2) | instid1(SALU_CYCLE_1)
	s_or_b32 s12, s13, s12
	s_cmp_eq_u64 s[6:7], 0
	s_cselect_b32 s13, -1, 0
	s_or_b32 s12, s13, s12
	s_delay_alu instid0(SALU_CYCLE_1)
	s_and_b32 vcc_lo, exec_lo, s12
	s_cbranch_vccnz .LBB2_6
; %bb.5:
	s_load_b32 s33, s[8:9], 0x0
.LBB2_6:
	s_cmp_eq_u64 s[10:11], 0
	s_cbranch_scc1 .LBB2_8
; %bb.7:
	s_load_b32 s43, s[10:11], 0x0
	s_branch .LBB2_9
.LBB2_8:
	s_mov_b32 s43, 1.0
.LBB2_9:
	s_load_b64 s[28:29], s[2:3], 0x28
	s_wait_kmcnt 0x0
	s_cmp_gt_f32 s33, 0
	s_getreg_b32 s10, hwreg(HW_REG_IB_STS2, 6, 4)
	v_and_b32_e32 v2, 0x3ff, v0
	s_cselect_b32 s40, -1, 0
	s_bfe_u32 s8, ttmp6, 0x4000c
	s_and_b32 s9, ttmp6, 15
	s_add_co_i32 s8, s8, 1
	s_delay_alu instid0(SALU_CYCLE_1) | instskip(NEXT) | instid1(SALU_CYCLE_1)
	s_mul_i32 s8, ttmp9, s8
	s_add_co_i32 s9, s9, s8
	s_cmp_eq_u32 s10, 0
	s_cselect_b32 s30, ttmp9, s9
	s_cmp_ngt_f32 s33, 0
	s_cbranch_scc1 .LBB2_18
; %bb.10:
	s_load_b32 s10, s[2:3], 0x7c
	s_load_b64 s[8:9], s[4:5], 0x0
	v_mov_b32_e32 v5, 0
	v_bfe_u32 v1, v0, 10, 10
	v_bfe_u32 v0, v0, 20, 10
	s_wait_kmcnt 0x0
	s_and_b32 s4, s10, 0xffff
	s_delay_alu instid0(SALU_CYCLE_1) | instskip(SKIP_1) | instid1(VALU_DEP_1)
	v_mad_u32 v4, s30, s4, v2
	s_load_b64 s[4:5], s[0:1], 0x4
	v_add_nc_u64_e32 v[4:5], s[8:9], v[4:5]
	s_wait_xcnt 0x0
	s_load_b64 s[0:1], s[6:7], 0x0
	s_delay_alu instid0(VALU_DEP_1) | instskip(SKIP_4) | instid1(VALU_DEP_2)
	v_lshrrev_b64 v[6:7], 30, v[4:5]
	s_wait_kmcnt 0x0
	s_lshr_b32 s4, s4, 16
	v_mul_u32_u24_e32 v1, s5, v1
	s_mul_i32 s4, s4, s5
	v_xor_b32_e32 v5, v7, v5
	s_delay_alu instid0(VALU_DEP_3) | instskip(NEXT) | instid1(VALU_DEP_1)
	v_xor_b32_e32 v4, v6, v4
	v_mul_u64_e32 v[4:5], 0xbf58476d1ce4e5b9, v[4:5]
	s_cmp_eq_u64 s[0:1], 0
	s_delay_alu instid0(VALU_DEP_1) | instskip(NEXT) | instid1(VALU_DEP_1)
	v_lshrrev_b64 v[6:7], 27, v[4:5]
	v_xor_b32_e32 v5, v7, v5
	s_delay_alu instid0(VALU_DEP_2) | instskip(NEXT) | instid1(VALU_DEP_1)
	v_xor_b32_e32 v4, v6, v4
	v_mul_u64_e32 v[4:5], 0x94d049bb133111eb, v[4:5]
	s_delay_alu instid0(VALU_DEP_1) | instskip(NEXT) | instid1(VALU_DEP_1)
	v_lshrrev_b64 v[6:7], 31, v[4:5]
	v_xor_b32_e32 v3, v6, v4
	s_delay_alu instid0(VALU_DEP_2) | instskip(SKIP_1) | instid1(VALU_DEP_3)
	v_xor_b32_e32 v4, v7, v5
	v_mul_u32_u24_e32 v5, s4, v2
	v_xor_b32_e32 v3, 0x2c7f967f, v3
	s_delay_alu instid0(VALU_DEP_3) | instskip(NEXT) | instid1(VALU_DEP_3)
	v_xor_b32_e32 v4, 0xa03697cb, v4
	v_add3_u32 v0, v5, v1, v0
	s_delay_alu instid0(VALU_DEP_3) | instskip(NEXT) | instid1(VALU_DEP_3)
	v_mul_lo_u32 v6, 0x493c4aa1, v3
	v_mul_lo_u32 v7, 0x7b99840d, v4
	s_delay_alu instid0(VALU_DEP_3) | instskip(NEXT) | instid1(VALU_DEP_3)
	v_mul_lo_u32 v8, v0, 48
	v_add_nc_u32_e32 v0, 0x75bcd15, v6
	v_xor_b32_e32 v1, 0x159a55e5, v6
	s_delay_alu instid0(VALU_DEP_4)
	v_add_nc_u32_e32 v4, 0x1f123bb5, v7
	v_xor_b32_e32 v5, 0x5491333, v7
	v_add_nc_u32_e32 v3, 0x583f19, v6
	ds_store_2addr_b64 v8, v[0:1], v[4:5] offset0:4 offset1:5
	ds_store_b32 v8, v3 offset:48
	s_cbranch_scc1 .LBB2_19
; %bb.11:
	v_or_b32_e32 v8, 8, v8
	s_mov_b64 s[36:37], s[0:1]
	s_get_pc_i64 s[34:35]
	s_add_nc_u64 s[34:35], s[34:35], _ZL22d_xorwow_jump_matrices@rel64+4
	s_branch .LBB2_13
.LBB2_12:                               ;   in Loop: Header=BB2_13 Depth=1
	v_cmp_lt_u64_e64 s1, s[36:37], 4
	s_lshr_b64 s[36:37], s[36:37], 2
	s_add_nc_u64 s[34:35], s[34:35], 0xc80
	s_and_b32 vcc_lo, exec_lo, s1
	s_cbranch_vccnz .LBB2_19
.LBB2_13:                               ; =>This Loop Header: Depth=1
                                        ;     Child Loop BB2_15 Depth 2
                                        ;       Child Loop BB2_16 Depth 3
	s_and_b32 s1, s36, 3
	s_delay_alu instid0(SALU_CYCLE_1)
	s_cmp_eq_u32 s1, 0
	s_cbranch_scc1 .LBB2_12
; %bb.14:                               ;   in Loop: Header=BB2_13 Depth=1
	s_mov_b32 s31, 0
.LBB2_15:                               ;   Parent Loop BB2_13 Depth=1
                                        ; =>  This Loop Header: Depth=2
                                        ;       Child Loop BB2_16 Depth 3
	v_dual_mov_b32 v0, 0 :: v_dual_mov_b32 v1, 0
	v_dual_mov_b32 v4, 0 :: v_dual_mov_b32 v5, 0
	v_mov_b32_e32 v3, 0
	s_mov_b32 s44, 4
	s_mov_b64 s[38:39], s[34:35]
.LBB2_16:                               ;   Parent Loop BB2_13 Depth=1
                                        ;     Parent Loop BB2_15 Depth=2
                                        ; =>    This Inner Loop Header: Depth=3
	s_add_co_i32 s45, s44, -4
	s_add_co_i32 s46, s44, -3
	s_add_co_i32 s47, s44, -2
	s_lshr_b32 s50, s44, 3
	s_lshr_b32 s51, s45, 3
	s_add_co_i32 s48, s44, -1
	s_lshr_b32 s52, s46, 3
	s_lshr_b32 s53, s47, 3
	s_and_b32 s50, s50, 0x1ffffffc
	s_and_b32 s51, s51, 0x1ffffffc
	s_lshr_b32 s54, s48, 3
	s_and_b32 s52, s52, 0x1ffffffc
	s_and_b32 s53, s53, 0x1ffffffc
	v_dual_add_nc_u32 v9, s50, v8 :: v_dual_add_nc_u32 v10, s51, v8
	s_and_b32 s54, s54, 0x1ffffffc
	v_dual_add_nc_u32 v11, s52, v8 :: v_dual_add_nc_u32 v12, s53, v8
	v_add_nc_u32_e32 v13, s54, v8
	s_clause 0x2
	s_load_b512 s[4:19], s[38:39], 0x0
	s_load_b32 s49, s[38:39], 0x60
	s_load_b256 s[20:27], s[38:39], 0x40
	ds_load_b32 v10, v10 offset:24
	ds_load_b32 v11, v11 offset:24
	;; [unrolled: 1-line block ×5, first 2 shown]
	s_wait_xcnt 0x0
	s_add_nc_u64 s[38:39], s[38:39], 0x64
	s_wait_dscnt 0x3
	v_dual_lshrrev_b32 v10, s45, v10 :: v_dual_lshrrev_b32 v11, s46, v11
	s_wait_dscnt 0x2
	v_lshrrev_b32_e32 v12, s47, v12
	s_delay_alu instid0(VALU_DEP_2) | instskip(NEXT) | instid1(VALU_DEP_3)
	v_bfe_i32 v10, v10, 0, 1
	v_bfe_i32 v11, v11, 0, 1
	s_wait_dscnt 0x1
	v_lshrrev_b32_e32 v13, s48, v13
	s_wait_dscnt 0x0
	v_lshrrev_b32_e32 v9, s44, v9
	v_bfe_i32 v12, v12, 0, 1
	s_wait_kmcnt 0x0
	v_bitop3_b32 v0, v10, v0, s4 bitop3:0x6c
	v_bitop3_b32 v1, v10, v1, s5 bitop3:0x6c
	;; [unrolled: 1-line block ×5, first 2 shown]
	v_and_b32_e32 v10, s9, v11
	v_bfe_i32 v13, v13, 0, 1
	v_and_b32_e32 v14, s10, v11
	v_bfe_i32 v9, v9, 0, 1
	v_and_b32_e32 v15, s11, v11
	v_and_b32_e32 v16, s12, v11
	;; [unrolled: 1-line block ×18, first 2 shown]
	v_xor3_b32 v0, v10, v0, v17
	v_xor3_b32 v1, v14, v1, v18
	;; [unrolled: 1-line block ×10, first 2 shown]
	s_add_co_i32 s44, s44, 5
	s_delay_alu instid0(SALU_CYCLE_1)
	s_cmp_lg_u32 s44, 0xa4
	s_cbranch_scc1 .LBB2_16
; %bb.17:                               ;   in Loop: Header=BB2_15 Depth=2
	s_add_co_i32 s31, s31, 1
	ds_store_2addr_b64 v8, v[0:1], v[4:5] offset0:3 offset1:4
	ds_store_b32 v8, v3 offset:40
	s_cmp_eq_u32 s31, s1
	s_cbranch_scc0 .LBB2_15
	s_branch .LBB2_12
.LBB2_18:
	v_mov_b32_e32 v1, 0x4f180e3a
	v_mov_b32_e32 v0, 0x61de28f4
	v_mov_b32_e32 v8, 0xe544adf7
	v_mov_b32_e32 v4, 0xa96f9d04
	v_mov_b32_e32 v5, 0x8f14727c
	v_mov_b32_e32 v3, 0x5ada9af8
	s_branch .LBB2_20
.LBB2_19:
	s_mul_i32 s0, s0, 0x587c5
	s_delay_alu instid0(SALU_CYCLE_1) | instskip(NEXT) | instid1(SALU_CYCLE_1)
	s_add_co_i32 s0, s0, 0x64f0c9
	v_add3_u32 v8, s0, v6, v7
.LBB2_20:
	s_clause 0x2
	s_load_b128 s[8:11], s[2:3], 0x10
	s_load_b64 s[6:7], s[2:3], 0x20
	s_load_b64 s[16:17], s[2:3], 0x68
	s_mov_b32 s31, 0
	v_dual_lshrrev_b32 v9, 5, v2 :: v_dual_bitop2_b32 v10, 31, v2 bitop3:0x40
	v_cmp_eq_u32_e64 s0, 0, v2
	v_mov_b32_e32 v11, 0
	s_delay_alu instid0(VALU_DEP_3)
	v_cmp_eq_u32_e64 s1, 0, v10
	s_wait_kmcnt 0x0
	v_cmp_le_u64_e64 s4, s[16:17], s[30:31]
	s_and_b32 vcc_lo, exec_lo, s4
	v_cmp_gt_u32_e64 s4, 2, v2
	s_cbranch_vccnz .LBB2_64
; %bb.21:
	s_sub_f32 s21, 1.0, s33
	s_load_b32 s22, s[2:3], 0x7c
	s_cmp_lg_u64 s[8:9], 0
	s_mov_b64 s[18:19], s[30:31]
	v_div_scale_f32 v6, null, s21, s21, s43
	v_div_scale_f32 v14, vcc_lo, s43, s21, s43
	s_cselect_b32 s5, -1, 0
	v_rcp_f32_e32 v11, v6
	v_nop
	v_xor_b32_e32 v6, 0x80000000, v6
	s_cmp_lg_u64 s[10:11], 0
	s_load_b32 s30, s[2:3], 0x60
	s_cselect_b32 s12, -1, 0
	s_mul_f32 s36, s42, s41
	s_and_b32 s5, s5, s12
	v_fma_f32 v7, v6, v11, 1.0
	s_and_b32 s5, s0, s5
	s_cmp_eq_u64 s[6:7], 0
	s_clause 0x1
	s_load_b128 s[12:15], s[2:3], 0x0
	s_load_b32 s20, s[2:3], 0x70
	s_cselect_b32 s34, -1, 0
	v_fmac_f32_e32 v11, v7, v11
	s_cmp_lg_u64 s[6:7], 0
	v_lshlrev_b32_e32 v12, 2, v9
	s_cselect_b32 s23, -1, 0
	s_wait_kmcnt 0x0
	s_and_b32 s35, s22, 0xffff
	s_delay_alu instid0(SALU_CYCLE_1) | instskip(NEXT) | instid1(VALU_DEP_1)
	v_dual_mul_f32 v15, v14, v11 :: v_dual_add_nc_u32 v13, s35, v2
	v_fma_f32 v7, v6, v15, v14
	v_cmp_gt_u32_e64 s2, s30, v2
	s_delay_alu instid0(VALU_DEP_3) | instskip(NEXT) | instid1(VALU_DEP_3)
	v_cmp_gt_u32_e64 s3, s30, v13
	v_dual_fmac_f32 v15, v7, v11 :: v_dual_mov_b32 v7, 0
	s_and_b32 s37, s23, s2
	s_delay_alu instid0(VALU_DEP_1) | instskip(NEXT) | instid1(VALU_DEP_1)
	v_fmac_f32_e32 v14, v6, v15
	v_div_fmas_f32 v6, v14, v11, v15
	v_dual_mov_b32 v11, 0 :: v_dual_lshlrev_b32 v14, 2, v2
	s_delay_alu instid0(VALU_DEP_2)
	v_div_fixup_f32 v15, v6, s21, s43
	s_mov_b32 s21, s31
	s_branch .LBB2_23
.LBB2_22:                               ;   in Loop: Header=BB2_23 Depth=1
	s_wait_xcnt 0x0
	s_or_b32 exec_lo, exec_lo, s22
	s_add_nc_u64 s[18:19], s[18:19], s[20:21]
	s_delay_alu instid0(SALU_CYCLE_1)
	v_cmp_ge_u64_e64 s22, s[18:19], s[16:17]
	s_and_b32 vcc_lo, exec_lo, s22
	s_cbranch_vccnz .LBB2_64
.LBB2_23:                               ; =>This Loop Header: Depth=1
                                        ;     Child Loop BB2_30 Depth 2
                                        ;     Child Loop BB2_36 Depth 2
	;; [unrolled: 1-line block ×4, first 2 shown]
	s_mul_u64 s[22:23], s[18:19], s[30:31]
	v_mov_b32_e32 v16, v7
	s_lshl_b64 s[24:25], s[22:23], 2
	s_delay_alu instid0(SALU_CYCLE_1)
	s_add_nc_u64 s[26:27], s[6:7], s[24:25]
	s_and_saveexec_b32 s22, s37
	s_cbranch_execz .LBB2_25
; %bb.24:                               ;   in Loop: Header=BB2_23 Depth=1
	global_load_b32 v16, v2, s[26:27] scale_offset
.LBB2_25:                               ;   in Loop: Header=BB2_23 Depth=1
	s_wait_xcnt 0x0
	s_or_b32 exec_lo, exec_lo, s22
	v_mov_b32_e32 v6, 0xff7fffff
	s_add_nc_u64 s[22:23], s[12:13], s[24:25]
	s_and_saveexec_b32 s38, s2
	s_cbranch_execz .LBB2_27
; %bb.26:                               ;   in Loop: Header=BB2_23 Depth=1
	global_load_b32 v6, v2, s[22:23] scale_offset
	s_wait_loadcnt 0x0
	v_sub_f32_e32 v6, v6, v16
	s_delay_alu instid0(VALU_DEP_1)
	v_mul_f32_e32 v6, s36, v6
.LBB2_27:                               ;   in Loop: Header=BB2_23 Depth=1
	s_wait_xcnt 0x0
	s_or_b32 exec_lo, exec_lo, s38
	s_delay_alu instid0(SALU_CYCLE_1)
	s_and_b32 vcc_lo, exec_lo, s34
	s_mov_b32 s38, -1
                                        ; implicit-def: $vgpr16
	s_cbranch_vccz .LBB2_33
; %bb.28:                               ;   in Loop: Header=BB2_23 Depth=1
	s_wait_loadcnt 0x0
	v_mov_b32_e32 v16, v6
	s_and_saveexec_b32 s38, s3
	s_cbranch_execz .LBB2_32
; %bb.29:                               ;   in Loop: Header=BB2_23 Depth=1
	v_dual_mov_b32 v17, v13 :: v_dual_mov_b32 v16, v6
	s_mov_b32 s39, 0
.LBB2_30:                               ;   Parent Loop BB2_23 Depth=1
                                        ; =>  This Inner Loop Header: Depth=2
	global_load_b32 v18, v17, s[22:23] scale_offset
	s_wait_xcnt 0x0
	v_dual_max_num_f32 v16, v16, v16 :: v_dual_add_nc_u32 v17, s35, v17
	s_delay_alu instid0(VALU_DEP_1) | instskip(SKIP_3) | instid1(VALU_DEP_1)
	v_cmp_le_u32_e32 vcc_lo, s30, v17
	s_or_b32 s39, vcc_lo, s39
	s_wait_loadcnt 0x0
	v_mul_f32_e32 v18, s36, v18
	v_max_num_f32_e32 v16, v18, v16
	s_and_not1_b32 exec_lo, exec_lo, s39
	s_cbranch_execnz .LBB2_30
; %bb.31:                               ;   in Loop: Header=BB2_23 Depth=1
	s_or_b32 exec_lo, exec_lo, s39
.LBB2_32:                               ;   in Loop: Header=BB2_23 Depth=1
	s_delay_alu instid0(SALU_CYCLE_1)
	s_or_b32 exec_lo, exec_lo, s38
	s_cbranch_execnz .LBB2_39
	s_branch .LBB2_34
.LBB2_33:                               ;   in Loop: Header=BB2_23 Depth=1
	s_and_not1_b32 vcc_lo, exec_lo, s38
	s_cbranch_vccnz .LBB2_39
.LBB2_34:                               ;   in Loop: Header=BB2_23 Depth=1
	s_and_saveexec_b32 s38, s3
	s_cbranch_execz .LBB2_38
; %bb.35:                               ;   in Loop: Header=BB2_23 Depth=1
	s_wait_loadcnt 0x0
	v_mov_b32_e32 v16, v13
	s_mov_b32 s39, 0
.LBB2_36:                               ;   Parent Loop BB2_23 Depth=1
                                        ; =>  This Inner Loop Header: Depth=2
	s_clause 0x1
	global_load_b32 v17, v16, s[22:23] scale_offset
	global_load_b32 v18, v16, s[26:27] scale_offset
	s_wait_xcnt 0x0
	v_add_nc_u32_e32 v16, s35, v16
	s_delay_alu instid0(VALU_DEP_1) | instskip(SKIP_3) | instid1(VALU_DEP_1)
	v_cmp_le_u32_e32 vcc_lo, s30, v16
	s_or_b32 s39, vcc_lo, s39
	s_wait_loadcnt 0x0
	v_sub_f32_e32 v17, v17, v18
	v_dual_max_num_f32 v6, v6, v6 :: v_dual_mul_f32 v17, s36, v17
	s_delay_alu instid0(VALU_DEP_1)
	v_max_num_f32_e32 v6, v17, v6
	s_and_not1_b32 exec_lo, exec_lo, s39
	s_cbranch_execnz .LBB2_36
; %bb.37:                               ;   in Loop: Header=BB2_23 Depth=1
	s_or_b32 exec_lo, exec_lo, s39
.LBB2_38:                               ;   in Loop: Header=BB2_23 Depth=1
	s_delay_alu instid0(SALU_CYCLE_1)
	s_or_b32 exec_lo, exec_lo, s38
	s_wait_loadcnt 0x0
	v_mov_b32_e32 v16, v6
.LBB2_39:                               ;   in Loop: Header=BB2_23 Depth=1
	s_wait_loadcnt 0x0
	ds_swizzle_b32 v6, v16 offset:swizzle(SWAP,1)
	s_wait_dscnt 0x0
	v_dual_max_num_f32 v16, v16, v16 :: v_dual_max_num_f32 v6, v6, v6
	s_delay_alu instid0(VALU_DEP_1) | instskip(SKIP_3) | instid1(VALU_DEP_1)
	v_max_num_f32_e32 v6, v6, v16
	ds_swizzle_b32 v16, v6 offset:swizzle(SWAP,2)
	s_wait_dscnt 0x0
	v_max_num_f32_e32 v16, v16, v16
	v_max_num_f32_e32 v6, v16, v6
	ds_swizzle_b32 v16, v6 offset:swizzle(SWAP,4)
	s_wait_dscnt 0x0
	v_max_num_f32_e32 v16, v16, v16
	s_delay_alu instid0(VALU_DEP_1) | instskip(SKIP_3) | instid1(VALU_DEP_1)
	v_max_num_f32_e32 v6, v16, v6
	ds_swizzle_b32 v16, v6 offset:swizzle(SWAP,8)
	s_wait_dscnt 0x0
	v_max_num_f32_e32 v16, v16, v16
	v_max_num_f32_e32 v6, v16, v6
	ds_swizzle_b32 v16, v6 offset:swizzle(SWAP,16)
	s_and_saveexec_b32 s26, s1
	s_cbranch_execz .LBB2_41
; %bb.40:                               ;   in Loop: Header=BB2_23 Depth=1
	s_wait_dscnt 0x0
	v_dual_max_num_f32 v6, v6, v6 :: v_dual_max_num_f32 v16, v16, v16
	s_delay_alu instid0(VALU_DEP_1)
	v_max_num_f32_e32 v6, v16, v6
	ds_store_b32 v12, v6
.LBB2_41:                               ;   in Loop: Header=BB2_23 Depth=1
	s_or_b32 exec_lo, exec_lo, s26
	s_wait_dscnt 0x0
	s_barrier_signal -1
	s_barrier_wait -1
	s_and_saveexec_b32 s26, s4
	s_cbranch_execz .LBB2_44
; %bb.42:                               ;   in Loop: Header=BB2_23 Depth=1
	ds_load_b32 v6, v14
	s_wait_dscnt 0x0
	ds_swizzle_b32 v16, v6 offset:swizzle(BITMASK_PERM,"0000i")
	s_and_b32 exec_lo, exec_lo, s0
	s_cbranch_execz .LBB2_44
; %bb.43:                               ;   in Loop: Header=BB2_23 Depth=1
	s_wait_dscnt 0x0
	v_dual_max_num_f32 v6, v6, v6 :: v_dual_max_num_f32 v16, v16, v16
	s_delay_alu instid0(VALU_DEP_1)
	v_max_num_f32_e32 v6, v16, v6
	ds_store_b32 v7, v6
.LBB2_44:                               ;   in Loop: Header=BB2_23 Depth=1
	s_or_b32 exec_lo, exec_lo, s26
	s_wait_dscnt 0x0
	s_barrier_signal -1
	s_barrier_wait -1
	ds_load_b32 v16, v7
	v_mov_b32_e32 v6, 0
	s_and_saveexec_b32 s26, s2
	s_cbranch_execz .LBB2_46
; %bb.45:                               ;   in Loop: Header=BB2_23 Depth=1
	global_load_b32 v6, v2, s[22:23] scale_offset
	s_wait_loadcnt_dscnt 0x0
	v_fma_f32 v6, s36, v6, -v16
	s_delay_alu instid0(VALU_DEP_1) | instskip(NEXT) | instid1(VALU_DEP_1)
	v_mul_f32_e32 v17, 0x3fb8aa3b, v6
	v_fma_f32 v18, 0x3fb8aa3b, v6, -v17
	v_rndne_f32_e32 v19, v17
	s_delay_alu instid0(VALU_DEP_1) | instskip(SKIP_1) | instid1(VALU_DEP_4)
	v_sub_f32_e32 v17, v17, v19
	v_cmp_ngt_f32_e32 vcc_lo, 0xc2ce8ed0, v6
	v_fmac_f32_e32 v18, 0x32a5705f, v6
	s_delay_alu instid0(VALU_DEP_1) | instskip(SKIP_1) | instid1(VALU_DEP_2)
	v_add_f32_e32 v17, v17, v18
	v_cvt_i32_f32_e32 v18, v19
	v_exp_f32_e32 v17, v17
	v_nop
	s_delay_alu instid0(TRANS32_DEP_1) | instskip(NEXT) | instid1(VALU_DEP_1)
	v_ldexp_f32 v17, v17, v18
	v_cndmask_b32_e32 v17, 0, v17, vcc_lo
	v_cmp_nlt_f32_e32 vcc_lo, 0x42b17218, v6
	s_delay_alu instid0(VALU_DEP_2)
	v_cndmask_b32_e32 v6, 0x7f800000, v17, vcc_lo
.LBB2_46:                               ;   in Loop: Header=BB2_23 Depth=1
	s_wait_xcnt 0x0
	s_or_b32 exec_lo, exec_lo, s26
	s_and_saveexec_b32 s26, s3
	s_cbranch_execz .LBB2_50
; %bb.47:                               ;   in Loop: Header=BB2_23 Depth=1
	v_mov_b32_e32 v17, v13
	s_mov_b32 s27, 0
.LBB2_48:                               ;   Parent Loop BB2_23 Depth=1
                                        ; =>  This Inner Loop Header: Depth=2
	global_load_b32 v18, v17, s[22:23] scale_offset
	s_wait_loadcnt_dscnt 0x0
	s_wait_xcnt 0x0
	v_dual_add_nc_u32 v17, s35, v17 :: v_dual_fma_f32 v18, s36, v18, -v16
	s_delay_alu instid0(VALU_DEP_1) | instskip(NEXT) | instid1(VALU_DEP_1)
	v_mul_f32_e32 v19, 0x3fb8aa3b, v18
	v_fma_f32 v20, 0x3fb8aa3b, v18, -v19
	v_rndne_f32_e32 v21, v19
	s_delay_alu instid0(VALU_DEP_1) | instskip(SKIP_1) | instid1(VALU_DEP_4)
	v_sub_f32_e32 v19, v19, v21
	v_cmp_ngt_f32_e32 vcc_lo, 0xc2ce8ed0, v18
	v_fmac_f32_e32 v20, 0x32a5705f, v18
	s_delay_alu instid0(VALU_DEP_1) | instskip(SKIP_1) | instid1(VALU_DEP_2)
	v_add_f32_e32 v19, v19, v20
	v_cvt_i32_f32_e32 v20, v21
	v_exp_f32_e32 v19, v19
	v_nop
	s_delay_alu instid0(TRANS32_DEP_1) | instskip(NEXT) | instid1(VALU_DEP_1)
	v_ldexp_f32 v19, v19, v20
	v_cndmask_b32_e32 v19, 0, v19, vcc_lo
	v_cmp_nlt_f32_e32 vcc_lo, 0x42b17218, v18
	s_delay_alu instid0(VALU_DEP_2) | instskip(SKIP_1) | instid1(VALU_DEP_2)
	v_cndmask_b32_e32 v18, 0x7f800000, v19, vcc_lo
	v_cmp_le_u32_e32 vcc_lo, s30, v17
	v_add_f32_e32 v6, v6, v18
	s_or_b32 s27, vcc_lo, s27
	s_delay_alu instid0(SALU_CYCLE_1)
	s_and_not1_b32 exec_lo, exec_lo, s27
	s_cbranch_execnz .LBB2_48
; %bb.49:                               ;   in Loop: Header=BB2_23 Depth=1
	s_or_b32 exec_lo, exec_lo, s27
.LBB2_50:                               ;   in Loop: Header=BB2_23 Depth=1
	s_delay_alu instid0(SALU_CYCLE_1)
	s_or_b32 exec_lo, exec_lo, s26
	ds_swizzle_b32 v17, v6 offset:swizzle(SWAP,1)
	s_wait_dscnt 0x0
	v_add_f32_e32 v6, v6, v17
	ds_swizzle_b32 v17, v6 offset:swizzle(SWAP,2)
	s_wait_dscnt 0x0
	v_add_f32_e32 v6, v6, v17
	;; [unrolled: 3-line block ×4, first 2 shown]
	ds_swizzle_b32 v17, v6 offset:swizzle(SWAP,16)
	s_and_saveexec_b32 s26, s1
	s_cbranch_execz .LBB2_52
; %bb.51:                               ;   in Loop: Header=BB2_23 Depth=1
	s_wait_dscnt 0x0
	v_add_f32_e32 v6, v6, v17
	ds_store_b32 v12, v6
.LBB2_52:                               ;   in Loop: Header=BB2_23 Depth=1
	s_or_b32 exec_lo, exec_lo, s26
	s_wait_dscnt 0x0
	s_barrier_signal -1
	s_barrier_wait -1
	s_and_saveexec_b32 s26, s4
	s_cbranch_execz .LBB2_55
; %bb.53:                               ;   in Loop: Header=BB2_23 Depth=1
	ds_load_b32 v6, v14
	s_wait_dscnt 0x0
	ds_swizzle_b32 v17, v6 offset:swizzle(BITMASK_PERM,"0000i")
	s_and_b32 exec_lo, exec_lo, s0
	s_cbranch_execz .LBB2_55
; %bb.54:                               ;   in Loop: Header=BB2_23 Depth=1
	s_wait_dscnt 0x0
	v_add_f32_e32 v6, v6, v17
	ds_store_b32 v7, v6
.LBB2_55:                               ;   in Loop: Header=BB2_23 Depth=1
	s_or_b32 exec_lo, exec_lo, s26
	s_wait_dscnt 0x0
	s_barrier_signal -1
	s_barrier_wait -1
	ds_load_b32 v6, v7
	s_wait_dscnt 0x0
	v_div_scale_f32 v17, null, v6, v6, 1.0
	s_delay_alu instid0(VALU_DEP_1)
	v_rcp_f32_e32 v18, v17
	v_nop
	v_xor_b32_e32 v17, 0x80000000, v17
	s_delay_alu instid0(TRANS32_DEP_1) | instid1(VALU_DEP_1)
	v_fma_f32 v19, v17, v18, 1.0
	s_delay_alu instid0(VALU_DEP_1) | instskip(SKIP_1) | instid1(VALU_DEP_1)
	v_fmac_f32_e32 v18, v19, v18
	v_div_scale_f32 v19, vcc_lo, 1.0, v6, 1.0
	v_mul_f32_e32 v20, v19, v18
	s_delay_alu instid0(VALU_DEP_1) | instskip(NEXT) | instid1(VALU_DEP_1)
	v_fma_f32 v21, v17, v20, v19
	v_fmac_f32_e32 v20, v21, v18
	s_delay_alu instid0(VALU_DEP_1) | instskip(NEXT) | instid1(VALU_DEP_1)
	v_fmac_f32_e32 v19, v17, v20
	v_div_fmas_f32 v17, v19, v18, v20
	s_delay_alu instid0(VALU_DEP_1)
	v_div_fixup_f32 v17, v17, v6, 1.0
	s_and_saveexec_b32 s26, s2
	s_cbranch_execz .LBB2_62
; %bb.56:                               ;   in Loop: Header=BB2_23 Depth=1
	v_mov_b32_e32 v6, v2
	s_add_nc_u64 s[24:25], s[14:15], s[24:25]
	s_mov_b32 s27, 0
                                        ; implicit-def: $sgpr38
	s_branch .LBB2_59
.LBB2_57:                               ;   in Loop: Header=BB2_59 Depth=2
	v_lshrrev_b32_e32 v18, 2, v0
	v_add_nc_u32_e32 v8, 0x587c5, v8
	s_and_not1_b32 s38, s38, exec_lo
	s_delay_alu instid0(VALU_DEP_2) | instskip(NEXT) | instid1(VALU_DEP_1)
	v_dual_lshlrev_b32 v18, 4, v3 :: v_dual_bitop2_b32 v0, v18, v0 bitop3:0x14
	v_lshlrev_b32_e32 v20, 1, v0
	s_delay_alu instid0(VALU_DEP_1) | instskip(NEXT) | instid1(VALU_DEP_1)
	v_xor_b32_e32 v18, v20, v18
	v_xor3_b32 v20, v18, v0, v3
	v_dual_mov_b32 v18, v4 :: v_dual_mov_b32 v4, v5
	s_delay_alu instid0(VALU_DEP_2) | instskip(SKIP_1) | instid1(VALU_DEP_2)
	v_dual_mov_b32 v5, v3 :: v_dual_add_nc_u32 v0, v20, v8
	v_mov_b32_e32 v3, v20
	v_cvt_f32_u32_e32 v0, v0
	s_delay_alu instid0(VALU_DEP_1) | instskip(NEXT) | instid1(VALU_DEP_1)
	v_fmaak_f32 v0, 0x2f800000, v0, 0x2f800000
	v_cmp_gt_f32_e32 vcc_lo, s33, v0
	v_dual_mov_b32 v0, v1 :: v_dual_mov_b32 v1, v18
	s_and_b32 s39, vcc_lo, exec_lo
	s_delay_alu instid0(SALU_CYCLE_1)
	s_or_b32 s38, s38, s39
.LBB2_58:                               ;   in Loop: Header=BB2_59 Depth=2
	s_wait_loadcnt 0x0
	v_fma_f32 v19, s36, v19, -v16
	v_max_num_f32_e32 v11, v11, v11
	s_delay_alu instid0(VALU_DEP_2) | instskip(NEXT) | instid1(VALU_DEP_1)
	v_mul_f32_e32 v20, 0x3fb8aa3b, v19
	v_fma_f32 v21, 0x3fb8aa3b, v19, -v20
	v_rndne_f32_e32 v22, v20
	s_delay_alu instid0(VALU_DEP_1) | instskip(SKIP_1) | instid1(VALU_DEP_4)
	v_sub_f32_e32 v20, v20, v22
	v_cmp_ngt_f32_e32 vcc_lo, 0xc2ce8ed0, v19
	v_fmac_f32_e32 v21, 0x32a5705f, v19
	s_delay_alu instid0(VALU_DEP_1) | instskip(SKIP_1) | instid1(VALU_DEP_2)
	v_add_f32_e32 v20, v20, v21
	v_cvt_i32_f32_e32 v21, v22
	v_exp_f32_e32 v20, v20
	v_nop
	s_delay_alu instid0(TRANS32_DEP_1) | instskip(NEXT) | instid1(VALU_DEP_1)
	v_ldexp_f32 v20, v20, v21
	v_cndmask_b32_e32 v20, 0, v20, vcc_lo
	v_cmp_nlt_f32_e32 vcc_lo, 0x42b17218, v19
	s_delay_alu instid0(VALU_DEP_2) | instskip(SKIP_2) | instid1(VALU_DEP_2)
	v_cndmask_b32_e32 v19, 0x7f800000, v20, vcc_lo
	v_lshl_add_u64 v[20:21], v[6:7], 2, s[24:25]
	s_wait_xcnt 0x0
	v_dual_mul_f32 v19, v17, v19 :: v_dual_add_nc_u32 v6, s35, v6
	s_delay_alu instid0(VALU_DEP_1) | instskip(NEXT) | instid1(VALU_DEP_2)
	v_cmp_le_u32_e32 vcc_lo, s30, v6
	v_mul_f32_e32 v22, v15, v19
	v_max_num_f32_e32 v11, v11, v19
	s_or_b32 s27, vcc_lo, s27
	s_delay_alu instid0(VALU_DEP_2)
	v_cndmask_b32_e64 v22, v22, 0, s38
	global_store_b32 v[20:21], v22, off
	s_wait_xcnt 0x0
	s_and_not1_b32 exec_lo, exec_lo, s27
	s_cbranch_execz .LBB2_61
.LBB2_59:                               ;   Parent Loop BB2_23 Depth=1
                                        ; =>  This Inner Loop Header: Depth=2
	global_load_b32 v19, v6, s[22:23] scale_offset
	s_and_not1_b32 vcc_lo, exec_lo, s40
	s_and_not1_b32 s38, s38, exec_lo
	s_cbranch_vccz .LBB2_57
; %bb.60:                               ;   in Loop: Header=BB2_59 Depth=2
	v_mov_b32_e32 v18, v1
	s_branch .LBB2_58
.LBB2_61:                               ;   in Loop: Header=BB2_23 Depth=1
	s_or_b32 exec_lo, exec_lo, s27
	v_mov_b32_e32 v1, v18
.LBB2_62:                               ;   in Loop: Header=BB2_23 Depth=1
	s_or_b32 exec_lo, exec_lo, s26
	s_and_saveexec_b32 s22, s5
	s_cbranch_execz .LBB2_22
; %bb.63:                               ;   in Loop: Header=BB2_23 Depth=1
	s_lshl_b64 s[24:25], s[18:19], 2
	s_delay_alu instid0(SALU_CYCLE_1)
	s_add_nc_u64 s[26:27], s[8:9], s[24:25]
	s_add_nc_u64 s[24:25], s[10:11], s[24:25]
	s_clause 0x1
	global_store_b32 v7, v16, s[26:27]
	global_store_b32 v7, v17, s[24:25]
	s_branch .LBB2_22
.LBB2_64:
	s_cmp_lg_u64 s[28:29], 0
	s_cbranch_scc0 .LBB2_73
; %bb.65:
	ds_swizzle_b32 v0, v11 offset:swizzle(SWAP,1)
	v_max_num_f32_e32 v1, v11, v11
	s_mov_b32 s1, exec_lo
	s_wait_dscnt 0x0
	v_max_num_f32_e32 v0, v0, v0
	s_delay_alu instid0(VALU_DEP_1) | instskip(SKIP_3) | instid1(VALU_DEP_1)
	v_max_num_f32_e32 v0, v0, v1
	ds_swizzle_b32 v1, v0 offset:swizzle(SWAP,2)
	s_wait_dscnt 0x0
	v_max_num_f32_e32 v1, v1, v1
	v_max_num_f32_e32 v0, v1, v0
	ds_swizzle_b32 v1, v0 offset:swizzle(SWAP,4)
	s_wait_dscnt 0x0
	v_max_num_f32_e32 v1, v1, v1
	s_delay_alu instid0(VALU_DEP_1) | instskip(SKIP_3) | instid1(VALU_DEP_1)
	v_max_num_f32_e32 v0, v1, v0
	ds_swizzle_b32 v1, v0 offset:swizzle(SWAP,8)
	s_wait_dscnt 0x0
	v_max_num_f32_e32 v1, v1, v1
	v_max_num_f32_e32 v0, v1, v0
	ds_swizzle_b32 v1, v0 offset:swizzle(SWAP,16)
	v_cmpx_eq_u32_e32 0, v10
	s_cbranch_execz .LBB2_67
; %bb.66:
	s_wait_dscnt 0x0
	v_dual_max_num_f32 v0, v0, v0 :: v_dual_max_num_f32 v1, v1, v1
	s_delay_alu instid0(VALU_DEP_1)
	v_dual_max_num_f32 v0, v1, v0 :: v_dual_lshlrev_b32 v3, 2, v9
	ds_store_b32 v3, v0
.LBB2_67:
	s_or_b32 exec_lo, exec_lo, s1
	s_delay_alu instid0(SALU_CYCLE_1)
	s_mov_b32 s1, exec_lo
	s_wait_storecnt_dscnt 0x0
	s_barrier_signal -1
	s_barrier_wait -1
	v_cmpx_gt_u32_e32 2, v2
	s_cbranch_execz .LBB2_70
; %bb.68:
	v_lshlrev_b32_e32 v0, 2, v2
	ds_load_b32 v0, v0
	s_wait_dscnt 0x0
	ds_swizzle_b32 v1, v0 offset:swizzle(BITMASK_PERM,"0000i")
	s_and_b32 exec_lo, exec_lo, s0
	s_cbranch_execz .LBB2_70
; %bb.69:
	s_wait_dscnt 0x0
	v_dual_max_num_f32 v0, v0, v0 :: v_dual_max_num_f32 v1, v1, v1
	s_delay_alu instid0(VALU_DEP_1)
	v_dual_max_num_f32 v0, v1, v0 :: v_dual_mov_b32 v1, 0
	ds_store_b32 v1, v0
.LBB2_70:
	s_or_b32 exec_lo, exec_lo, s1
	s_wait_dscnt 0x0
	s_barrier_signal -1
	s_barrier_wait -1
	s_and_saveexec_b32 s1, s0
	s_cbranch_execz .LBB2_73
; %bb.71:
	v_mbcnt_lo_u32_b32 v0, exec_lo, 0
	s_delay_alu instid0(VALU_DEP_1)
	v_cmp_eq_u32_e32 vcc_lo, 0, v0
	s_and_b32 exec_lo, exec_lo, vcc_lo
	s_cbranch_execz .LBB2_73
; %bb.72:
	v_mov_b32_e32 v0, 0
	ds_load_b32 v1, v0
	s_wait_dscnt 0x0
	global_atomic_max_i32 v0, v1, s[28:29] scope:SCOPE_DEV
.LBB2_73:
	s_endpgm
	.section	.rodata,"a",@progbits
	.p2align	6, 0x0
	.amdhsa_kernel SoftMaxCommon
		.amdhsa_group_segment_fixed_size 3080
		.amdhsa_private_segment_fixed_size 0
		.amdhsa_kernarg_size 368
		.amdhsa_user_sgpr_count 4
		.amdhsa_user_sgpr_dispatch_ptr 1
		.amdhsa_user_sgpr_queue_ptr 0
		.amdhsa_user_sgpr_kernarg_segment_ptr 1
		.amdhsa_user_sgpr_dispatch_id 0
		.amdhsa_user_sgpr_kernarg_preload_length 0
		.amdhsa_user_sgpr_kernarg_preload_offset 0
		.amdhsa_user_sgpr_private_segment_size 0
		.amdhsa_wavefront_size32 1
		.amdhsa_uses_dynamic_stack 0
		.amdhsa_enable_private_segment 0
		.amdhsa_system_sgpr_workgroup_id_x 1
		.amdhsa_system_sgpr_workgroup_id_y 0
		.amdhsa_system_sgpr_workgroup_id_z 0
		.amdhsa_system_sgpr_workgroup_info 0
		.amdhsa_system_vgpr_workitem_id 2
		.amdhsa_next_free_vgpr 29
		.amdhsa_next_free_sgpr 55
		.amdhsa_named_barrier_count 0
		.amdhsa_reserve_vcc 1
		.amdhsa_float_round_mode_32 0
		.amdhsa_float_round_mode_16_64 0
		.amdhsa_float_denorm_mode_32 3
		.amdhsa_float_denorm_mode_16_64 3
		.amdhsa_fp16_overflow 0
		.amdhsa_memory_ordered 1
		.amdhsa_forward_progress 1
		.amdhsa_inst_pref_size 29
		.amdhsa_round_robin_scheduling 0
		.amdhsa_exception_fp_ieee_invalid_op 0
		.amdhsa_exception_fp_denorm_src 0
		.amdhsa_exception_fp_ieee_div_zero 0
		.amdhsa_exception_fp_ieee_overflow 0
		.amdhsa_exception_fp_ieee_underflow 0
		.amdhsa_exception_fp_ieee_inexact 0
		.amdhsa_exception_int_div_zero 0
	.end_amdhsa_kernel
	.text
.Lfunc_end2:
	.size	SoftMaxCommon, .Lfunc_end2-SoftMaxCommon
                                        ; -- End function
	.set SoftMaxCommon.num_vgpr, 29
	.set SoftMaxCommon.num_agpr, 0
	.set SoftMaxCommon.numbered_sgpr, 55
	.set SoftMaxCommon.num_named_barrier, 0
	.set SoftMaxCommon.private_seg_size, 0
	.set SoftMaxCommon.uses_vcc, 1
	.set SoftMaxCommon.uses_flat_scratch, 0
	.set SoftMaxCommon.has_dyn_sized_stack, 0
	.set SoftMaxCommon.has_recursion, 0
	.set SoftMaxCommon.has_indirect_call, 0
	.section	.AMDGPU.csdata,"",@progbits
; Kernel info:
; codeLenInByte = 3696
; TotalNumSgprs: 57
; NumVgprs: 29
; ScratchSize: 0
; MemoryBound: 0
; FloatMode: 240
; IeeeMode: 1
; LDSByteSize: 3080 bytes/workgroup (compile time only)
; SGPRBlocks: 0
; VGPRBlocks: 1
; NumSGPRsForWavesPerEU: 57
; NumVGPRsForWavesPerEU: 29
; NamedBarCnt: 0
; Occupancy: 16
; WaveLimiterHint : 1
; COMPUTE_PGM_RSRC2:SCRATCH_EN: 0
; COMPUTE_PGM_RSRC2:USER_SGPR: 4
; COMPUTE_PGM_RSRC2:TRAP_HANDLER: 0
; COMPUTE_PGM_RSRC2:TGID_X_EN: 1
; COMPUTE_PGM_RSRC2:TGID_Y_EN: 0
; COMPUTE_PGM_RSRC2:TGID_Z_EN: 0
; COMPUTE_PGM_RSRC2:TIDIG_COMP_CNT: 2
	.text
	.protected	ScaleReduce             ; -- Begin function ScaleReduce
	.globl	ScaleReduce
	.p2align	8
	.type	ScaleReduce,@function
ScaleReduce:                            ; @ScaleReduce
; %bb.0:
	s_clause 0x1
	s_load_b32 s2, s[0:1], 0x44
	s_load_b64 s[10:11], s[0:1], 0x30
	s_bfe_u32 s3, ttmp6, 0x4000c
	s_and_b32 s4, ttmp6, 15
	s_add_co_i32 s3, s3, 1
	s_getreg_b32 s5, hwreg(HW_REG_IB_STS2, 6, 4)
	s_mul_i32 s3, ttmp9, s3
	v_mov_b32_e32 v3, 0
	s_add_co_i32 s4, s4, s3
	s_mov_b32 s9, 0
	s_mov_b32 s12, exec_lo
	s_wait_kmcnt 0x0
	s_and_b32 s8, s2, 0xffff
	s_load_b64 s[2:3], s[0:1], 0x10
	s_cmp_eq_u32 s5, 0
	s_cselect_b32 s4, ttmp9, s4
	s_delay_alu instid0(SALU_CYCLE_1) | instskip(NEXT) | instid1(VALU_DEP_1)
	v_mad_u32 v2, s4, s8, v0
	v_cmpx_gt_i64_e64 s[10:11], v[2:3]
	s_cbranch_execz .LBB3_4
; %bb.1:
	s_clause 0x1
	s_load_b128 s[16:19], s[0:1], 0x18
	s_load_b64 s[14:15], s[0:1], 0x28
	s_add_nc_u64 s[20:21], s[0:1], 56
	v_lshlrev_b64_e32 v[4:5], 2, v[2:3]
	v_mov_b32_e32 v3, 0
	s_wait_kmcnt 0x0
	s_load_b32 s22, s[16:17], 0x0
	s_load_b32 s23, s[18:19], 0x0
	;; [unrolled: 1-line block ×3, first 2 shown]
	s_load_b128 s[4:7], s[0:1], 0x0
	s_load_b32 s13, s[14:15], 0x0
	s_wait_xcnt 0x0
	s_lshl_b64 s[0:1], s[10:11], 2
	s_wait_kmcnt 0x0
	s_mul_f32 s14, s22, s23
	s_mul_i32 s8, s24, s8
	s_add_nc_u64 s[0:1], s[4:5], s[0:1]
	s_lshl_b64 s[10:11], s[8:9], 2
.LBB3_2:                                ; =>This Inner Loop Header: Depth=1
	v_add_nc_u64_e32 v[6:7], s[4:5], v[4:5]
	global_load_b32 v1, v[6:7], off
	s_wait_xcnt 0x0
	v_add_nc_u64_e32 v[6:7], s[6:7], v[4:5]
	v_add_nc_u64_e32 v[4:5], s[10:11], v[4:5]
	v_max_num_f32_e32 v2, v3, v3
	s_delay_alu instid0(VALU_DEP_2) | instskip(NEXT) | instid1(VALU_DEP_1)
	v_add_nc_u64_e32 v[8:9], s[4:5], v[4:5]
	v_cmp_le_u64_e32 vcc_lo, s[0:1], v[8:9]
	s_or_b32 s9, vcc_lo, s9
	s_wait_loadcnt 0x0
	v_mul_f32_e32 v1, s14, v1
	s_delay_alu instid0(VALU_DEP_1)
	v_mul_f32_e32 v8, s13, v1
	v_max_num_f32_e64 v3, v2, |v1|
	global_store_b32 v[6:7], v8, off
	s_wait_xcnt 0x0
	s_and_not1_b32 exec_lo, exec_lo, s9
	s_cbranch_execnz .LBB3_2
; %bb.3:
	s_or_b32 exec_lo, exec_lo, s9
.LBB3_4:
	s_delay_alu instid0(SALU_CYCLE_1)
	s_or_b32 exec_lo, exec_lo, s12
	ds_swizzle_b32 v1, v3 offset:swizzle(SWAP,1)
	v_max_num_f32_e32 v2, v3, v3
	s_wait_xcnt 0x0
	s_mov_b32 s0, exec_lo
	s_wait_dscnt 0x0
	v_dual_max_num_f32 v1, v1, v1 :: v_dual_bitop2_b32 v3, 31, v0 bitop3:0x40
	s_delay_alu instid0(VALU_DEP_1) | instskip(SKIP_3) | instid1(VALU_DEP_1)
	v_max_num_f32_e32 v1, v1, v2
	ds_swizzle_b32 v2, v1 offset:swizzle(SWAP,2)
	s_wait_dscnt 0x0
	v_max_num_f32_e32 v2, v2, v2
	v_max_num_f32_e32 v1, v2, v1
	ds_swizzle_b32 v2, v1 offset:swizzle(SWAP,4)
	s_wait_dscnt 0x0
	v_max_num_f32_e32 v2, v2, v2
	s_delay_alu instid0(VALU_DEP_1) | instskip(SKIP_3) | instid1(VALU_DEP_1)
	v_max_num_f32_e32 v1, v2, v1
	ds_swizzle_b32 v2, v1 offset:swizzle(SWAP,8)
	s_wait_dscnt 0x0
	v_max_num_f32_e32 v2, v2, v2
	v_max_num_f32_e32 v1, v2, v1
	ds_swizzle_b32 v2, v1 offset:swizzle(SWAP,16)
	v_cmpx_eq_u32_e32 0, v3
	s_cbranch_execz .LBB3_6
; %bb.5:
	s_wait_dscnt 0x0
	v_dual_max_num_f32 v1, v1, v1 :: v_dual_max_num_f32 v2, v2, v2
	s_delay_alu instid0(VALU_DEP_1)
	v_dual_lshrrev_b32 v3, 3, v0 :: v_dual_max_num_f32 v1, v2, v1
	ds_store_b32 v3, v1
.LBB3_6:
	s_or_b32 exec_lo, exec_lo, s0
	s_delay_alu instid0(SALU_CYCLE_1)
	s_mov_b32 s0, exec_lo
	s_wait_storecnt_dscnt 0x0
	s_barrier_signal -1
	s_barrier_wait -1
	v_cmpx_gt_u32_e32 2, v0
	s_cbranch_execz .LBB3_9
; %bb.7:
	v_lshlrev_b32_e32 v1, 2, v0
	v_cmp_eq_u32_e32 vcc_lo, 0, v0
	ds_load_b32 v1, v1
	s_wait_dscnt 0x0
	ds_swizzle_b32 v2, v1 offset:swizzle(BITMASK_PERM,"0000i")
	s_and_b32 exec_lo, exec_lo, vcc_lo
	s_cbranch_execz .LBB3_9
; %bb.8:
	s_wait_dscnt 0x0
	v_dual_max_num_f32 v1, v1, v1 :: v_dual_max_num_f32 v2, v2, v2
	s_delay_alu instid0(VALU_DEP_1)
	v_dual_max_num_f32 v1, v2, v1 :: v_dual_mov_b32 v2, 0
	ds_store_b32 v2, v1
.LBB3_9:
	s_or_b32 exec_lo, exec_lo, s0
	s_wait_dscnt 0x0
	s_barrier_signal -1
	s_barrier_wait -1
	s_mov_b32 s0, exec_lo
	v_cmpx_eq_u32_e32 0, v0
	s_cbranch_execz .LBB3_12
; %bb.10:
	v_mbcnt_lo_u32_b32 v0, exec_lo, 0
	s_delay_alu instid0(VALU_DEP_1)
	v_cmp_eq_u32_e32 vcc_lo, 0, v0
	s_and_b32 exec_lo, exec_lo, vcc_lo
	s_cbranch_execz .LBB3_12
; %bb.11:
	v_mov_b32_e32 v0, 0
	ds_load_b32 v1, v0
	s_wait_dscnt 0x0
	s_wait_kmcnt 0x0
	global_atomic_max_i32 v0, v1, s[2:3] scope:SCOPE_DEV
.LBB3_12:
	s_endpgm
	.section	.rodata,"a",@progbits
	.p2align	6, 0x0
	.amdhsa_kernel ScaleReduce
		.amdhsa_group_segment_fixed_size 8
		.amdhsa_private_segment_fixed_size 0
		.amdhsa_kernarg_size 312
		.amdhsa_user_sgpr_count 2
		.amdhsa_user_sgpr_dispatch_ptr 0
		.amdhsa_user_sgpr_queue_ptr 0
		.amdhsa_user_sgpr_kernarg_segment_ptr 1
		.amdhsa_user_sgpr_dispatch_id 0
		.amdhsa_user_sgpr_kernarg_preload_length 0
		.amdhsa_user_sgpr_kernarg_preload_offset 0
		.amdhsa_user_sgpr_private_segment_size 0
		.amdhsa_wavefront_size32 1
		.amdhsa_uses_dynamic_stack 0
		.amdhsa_enable_private_segment 0
		.amdhsa_system_sgpr_workgroup_id_x 1
		.amdhsa_system_sgpr_workgroup_id_y 0
		.amdhsa_system_sgpr_workgroup_id_z 0
		.amdhsa_system_sgpr_workgroup_info 0
		.amdhsa_system_vgpr_workitem_id 0
		.amdhsa_next_free_vgpr 10
		.amdhsa_next_free_sgpr 25
		.amdhsa_named_barrier_count 0
		.amdhsa_reserve_vcc 1
		.amdhsa_float_round_mode_32 0
		.amdhsa_float_round_mode_16_64 0
		.amdhsa_float_denorm_mode_32 3
		.amdhsa_float_denorm_mode_16_64 3
		.amdhsa_fp16_overflow 0
		.amdhsa_memory_ordered 1
		.amdhsa_forward_progress 1
		.amdhsa_inst_pref_size 6
		.amdhsa_round_robin_scheduling 0
		.amdhsa_exception_fp_ieee_invalid_op 0
		.amdhsa_exception_fp_denorm_src 0
		.amdhsa_exception_fp_ieee_div_zero 0
		.amdhsa_exception_fp_ieee_overflow 0
		.amdhsa_exception_fp_ieee_underflow 0
		.amdhsa_exception_fp_ieee_inexact 0
		.amdhsa_exception_int_div_zero 0
	.end_amdhsa_kernel
	.text
.Lfunc_end3:
	.size	ScaleReduce, .Lfunc_end3-ScaleReduce
                                        ; -- End function
	.set ScaleReduce.num_vgpr, 10
	.set ScaleReduce.num_agpr, 0
	.set ScaleReduce.numbered_sgpr, 25
	.set ScaleReduce.num_named_barrier, 0
	.set ScaleReduce.private_seg_size, 0
	.set ScaleReduce.uses_vcc, 1
	.set ScaleReduce.uses_flat_scratch, 0
	.set ScaleReduce.has_dyn_sized_stack, 0
	.set ScaleReduce.has_recursion, 0
	.set ScaleReduce.has_indirect_call, 0
	.section	.AMDGPU.csdata,"",@progbits
; Kernel info:
; codeLenInByte = 672
; TotalNumSgprs: 27
; NumVgprs: 10
; ScratchSize: 0
; MemoryBound: 0
; FloatMode: 240
; IeeeMode: 1
; LDSByteSize: 8 bytes/workgroup (compile time only)
; SGPRBlocks: 0
; VGPRBlocks: 0
; NumSGPRsForWavesPerEU: 27
; NumVGPRsForWavesPerEU: 10
; NamedBarCnt: 0
; Occupancy: 16
; WaveLimiterHint : 0
; COMPUTE_PGM_RSRC2:SCRATCH_EN: 0
; COMPUTE_PGM_RSRC2:USER_SGPR: 2
; COMPUTE_PGM_RSRC2:TRAP_HANDLER: 0
; COMPUTE_PGM_RSRC2:TGID_X_EN: 1
; COMPUTE_PGM_RSRC2:TGID_Y_EN: 0
; COMPUTE_PGM_RSRC2:TGID_Z_EN: 0
; COMPUTE_PGM_RSRC2:TIDIG_COMP_CNT: 0
	.text
	.protected	ScaleRowReduceWarp      ; -- Begin function ScaleRowReduceWarp
	.globl	ScaleRowReduceWarp
	.p2align	8
	.type	ScaleRowReduceWarp,@function
ScaleRowReduceWarp:                     ; @ScaleRowReduceWarp
; %bb.0:
	s_load_b64 s[2:3], s[0:1], 0x38
	s_bfe_u32 s4, ttmp6, 0x4000c
	s_and_b32 s5, ttmp6, 15
	s_add_co_i32 s4, s4, 1
	s_getreg_b32 s6, hwreg(HW_REG_IB_STS2, 6, 4)
	s_mul_i32 s4, ttmp9, s4
	v_dual_lshrrev_b32 v1, 5, v0 :: v_dual_mov_b32 v3, 0
	s_add_co_i32 s5, s5, s4
	s_cmp_eq_u32 s6, 0
	s_mov_b32 s13, 0
	s_cselect_b32 s4, ttmp9, s5
	s_delay_alu instid0(SALU_CYCLE_1) | instskip(SKIP_2) | instid1(VALU_DEP_1)
	v_lshl_or_b32 v2, s4, 1, v1
	s_mov_b32 s4, exec_lo
	s_wait_kmcnt 0x0
	v_cmpx_gt_u64_e64 s[2:3], v[2:3]
	s_cbranch_execz .LBB4_7
; %bb.1:
	s_clause 0x2
	s_load_b32 s14, s[0:1], 0x30
	s_load_b256 s[4:11], s[0:1], 0x0
	s_load_b128 s[16:19], s[0:1], 0x20
	s_mov_b32 s15, s13
	s_wait_xcnt 0x0
	s_load_b32 s0, s[0:1], 0x40
	v_dual_mov_b32 v1, v3 :: v_dual_bitop2_b32 v6, 31, v0 bitop3:0x40
	s_wait_kmcnt 0x0
	s_load_b32 s1, s[10:11], 0x0
	s_load_b32 s12, s[16:17], 0x0
	;; [unrolled: 1-line block ×3, first 2 shown]
	v_mul_u64_e32 v[4:5], s[14:15], v[2:3]
	v_lshlrev_b32_e32 v0, 2, v6
	v_cmp_eq_u32_e32 vcc_lo, 0, v6
	s_wait_kmcnt 0x0
	s_mul_f32 s1, s1, s12
	s_sub_f32 s16, 1.0, s20
	s_lshl_b32 s12, s0, 1
	v_cmp_gt_u32_e64 s0, s14, v6
	s_mul_u64 s[10:11], s[14:15], s[12:13]
	s_mul_f32 s14, s1, s16
	v_lshl_add_u64 v[0:1], v[4:5], 2, v[0:1]
	v_lshl_add_u64 v[4:5], v[2:3], 2, s[8:9]
	s_lshl_b64 s[8:9], s[10:11], 2
	s_lshl_b64 s[10:11], s[12:13], 2
	s_branch .LBB4_3
.LBB4_2:                                ;   in Loop: Header=BB4_3 Depth=1
	s_wait_xcnt 0x0
	s_or_b32 exec_lo, exec_lo, s1
	v_add_nc_u64_e32 v[2:3], s[12:13], v[2:3]
	v_add_nc_u64_e32 v[0:1], s[8:9], v[0:1]
	;; [unrolled: 1-line block ×3, first 2 shown]
	s_delay_alu instid0(VALU_DEP_3) | instskip(SKIP_1) | instid1(SALU_CYCLE_1)
	v_cmp_le_u64_e64 s1, s[2:3], v[2:3]
	s_or_b32 s15, s1, s15
	s_and_not1_b32 exec_lo, exec_lo, s15
	s_cbranch_execz .LBB4_7
.LBB4_3:                                ; =>This Inner Loop Header: Depth=1
	v_mov_b32_e32 v6, 0
	s_and_saveexec_b32 s1, s0
	s_cbranch_execz .LBB4_5
; %bb.4:                                ;   in Loop: Header=BB4_3 Depth=1
	s_wait_dscnt 0x0
	v_add_nc_u64_e32 v[6:7], s[4:5], v[0:1]
	v_add_nc_u64_e32 v[8:9], s[6:7], v[0:1]
	global_load_b32 v10, v[6:7], off
	global_load_b32 v11, v[8:9], off
	s_wait_loadcnt 0x0
	s_wait_xcnt 0x1
	v_mul_f32_e32 v6, v10, v11
	s_delay_alu instid0(VALU_DEP_1)
	v_mul_f32_e32 v6, s14, v6
.LBB4_5:                                ;   in Loop: Header=BB4_3 Depth=1
	s_wait_xcnt 0x0
	s_or_b32 exec_lo, exec_lo, s1
	s_wait_dscnt 0x0
	ds_swizzle_b32 v7, v6 offset:swizzle(SWAP,1)
	s_wait_dscnt 0x0
	v_add_f32_e32 v6, v6, v7
	ds_swizzle_b32 v7, v6 offset:swizzle(SWAP,2)
	s_wait_dscnt 0x0
	v_add_f32_e32 v6, v6, v7
	;; [unrolled: 3-line block ×4, first 2 shown]
	ds_swizzle_b32 v7, v6 offset:swizzle(SWAP,16)
	s_and_saveexec_b32 s1, vcc_lo
	s_cbranch_execz .LBB4_2
; %bb.6:                                ;   in Loop: Header=BB4_3 Depth=1
	s_wait_dscnt 0x0
	v_add_f32_e32 v6, v6, v7
	global_store_b32 v[4:5], v6, off
	s_branch .LBB4_2
.LBB4_7:
	s_endpgm
	.section	.rodata,"a",@progbits
	.p2align	6, 0x0
	.amdhsa_kernel ScaleRowReduceWarp
		.amdhsa_group_segment_fixed_size 0
		.amdhsa_private_segment_fixed_size 0
		.amdhsa_kernarg_size 320
		.amdhsa_user_sgpr_count 2
		.amdhsa_user_sgpr_dispatch_ptr 0
		.amdhsa_user_sgpr_queue_ptr 0
		.amdhsa_user_sgpr_kernarg_segment_ptr 1
		.amdhsa_user_sgpr_dispatch_id 0
		.amdhsa_user_sgpr_kernarg_preload_length 0
		.amdhsa_user_sgpr_kernarg_preload_offset 0
		.amdhsa_user_sgpr_private_segment_size 0
		.amdhsa_wavefront_size32 1
		.amdhsa_uses_dynamic_stack 0
		.amdhsa_enable_private_segment 0
		.amdhsa_system_sgpr_workgroup_id_x 1
		.amdhsa_system_sgpr_workgroup_id_y 0
		.amdhsa_system_sgpr_workgroup_id_z 0
		.amdhsa_system_sgpr_workgroup_info 0
		.amdhsa_system_vgpr_workitem_id 0
		.amdhsa_next_free_vgpr 12
		.amdhsa_next_free_sgpr 21
		.amdhsa_named_barrier_count 0
		.amdhsa_reserve_vcc 1
		.amdhsa_float_round_mode_32 0
		.amdhsa_float_round_mode_16_64 0
		.amdhsa_float_denorm_mode_32 3
		.amdhsa_float_denorm_mode_16_64 3
		.amdhsa_fp16_overflow 0
		.amdhsa_memory_ordered 1
		.amdhsa_forward_progress 1
		.amdhsa_inst_pref_size 4
		.amdhsa_round_robin_scheduling 0
		.amdhsa_exception_fp_ieee_invalid_op 0
		.amdhsa_exception_fp_denorm_src 0
		.amdhsa_exception_fp_ieee_div_zero 0
		.amdhsa_exception_fp_ieee_overflow 0
		.amdhsa_exception_fp_ieee_underflow 0
		.amdhsa_exception_fp_ieee_inexact 0
		.amdhsa_exception_int_div_zero 0
	.end_amdhsa_kernel
	.text
.Lfunc_end4:
	.size	ScaleRowReduceWarp, .Lfunc_end4-ScaleRowReduceWarp
                                        ; -- End function
	.set ScaleRowReduceWarp.num_vgpr, 12
	.set ScaleRowReduceWarp.num_agpr, 0
	.set ScaleRowReduceWarp.numbered_sgpr, 21
	.set ScaleRowReduceWarp.num_named_barrier, 0
	.set ScaleRowReduceWarp.private_seg_size, 0
	.set ScaleRowReduceWarp.uses_vcc, 1
	.set ScaleRowReduceWarp.uses_flat_scratch, 0
	.set ScaleRowReduceWarp.has_dyn_sized_stack, 0
	.set ScaleRowReduceWarp.has_recursion, 0
	.set ScaleRowReduceWarp.has_indirect_call, 0
	.section	.AMDGPU.csdata,"",@progbits
; Kernel info:
; codeLenInByte = 480
; TotalNumSgprs: 23
; NumVgprs: 12
; ScratchSize: 0
; MemoryBound: 0
; FloatMode: 240
; IeeeMode: 1
; LDSByteSize: 0 bytes/workgroup (compile time only)
; SGPRBlocks: 0
; VGPRBlocks: 0
; NumSGPRsForWavesPerEU: 23
; NumVGPRsForWavesPerEU: 12
; NamedBarCnt: 0
; Occupancy: 16
; WaveLimiterHint : 0
; COMPUTE_PGM_RSRC2:SCRATCH_EN: 0
; COMPUTE_PGM_RSRC2:USER_SGPR: 2
; COMPUTE_PGM_RSRC2:TRAP_HANDLER: 0
; COMPUTE_PGM_RSRC2:TGID_X_EN: 1
; COMPUTE_PGM_RSRC2:TGID_Y_EN: 0
; COMPUTE_PGM_RSRC2:TGID_Z_EN: 0
; COMPUTE_PGM_RSRC2:TIDIG_COMP_CNT: 0
	.text
	.protected	ScaleRowReduceBlock     ; -- Begin function ScaleRowReduceBlock
	.globl	ScaleRowReduceBlock
	.p2align	8
	.type	ScaleRowReduceBlock,@function
ScaleRowReduceBlock:                    ; @ScaleRowReduceBlock
; %bb.0:
	s_load_b64 s[12:13], s[0:1], 0x38
	s_bfe_u32 s2, ttmp6, 0x4000c
	s_and_b32 s3, ttmp6, 15
	s_add_co_i32 s2, s2, 1
	s_getreg_b32 s4, hwreg(HW_REG_IB_STS2, 6, 4)
	s_mul_i32 s2, ttmp9, s2
	s_mov_b32 s15, 0
	s_add_co_i32 s3, s3, s2
	s_cmp_eq_u32 s4, 0
	s_cselect_b32 s14, ttmp9, s3
	s_wait_kmcnt 0x0
	v_cmp_le_u64_e64 s2, s[12:13], s[14:15]
	s_and_b32 vcc_lo, exec_lo, s2
	s_cbranch_vccnz .LBB5_12
; %bb.1:
	s_clause 0x3
	s_load_b256 s[4:11], s[0:1], 0x0
	s_load_b128 s[20:23], s[0:1], 0x20
	s_load_b32 s18, s[0:1], 0x30
	s_load_b32 s16, s[0:1], 0x40
	v_dual_lshrrev_b32 v4, 3, v0 :: v_dual_bitop2_b32 v1, 31, v0 bitop3:0x40
	v_dual_mov_b32 v3, 0 :: v_dual_lshlrev_b32 v2, 2, v0
	s_mov_b32 s19, s15
	s_mov_b32 s17, s15
	s_wait_xcnt 0x0
	v_cmp_gt_u32_e64 s0, 2, v0
	v_cmp_eq_u32_e64 s1, 0, v0
	v_cmp_eq_u32_e64 s2, 0, v1
	v_and_b32_e32 v4, 4, v4
	s_wait_kmcnt 0x0
	s_load_b32 s24, s[10:11], 0x0
	s_load_b32 s25, s[20:21], 0x0
	s_load_b32 s26, s[22:23], 0x0
	s_wait_xcnt 0x0
	s_mul_u64 s[10:11], s[14:15], s[18:19]
	v_cmp_gt_u32_e64 s3, s18, v0
	v_lshl_add_u64 v[0:1], s[10:11], 2, v[2:3]
	s_lshl_b64 s[22:23], s[14:15], 2
	s_mul_u64 s[18:19], s[16:17], s[18:19]
	s_add_nc_u64 s[8:9], s[8:9], s[22:23]
	s_lshl_b64 s[10:11], s[18:19], 2
	s_lshl_b64 s[18:19], s[16:17], 2
	s_wait_kmcnt 0x0
	s_mul_f32 s20, s24, s25
	s_sub_f32 s21, 1.0, s26
	s_delay_alu instid0(SALU_CYCLE_3)
	s_mul_f32 s20, s20, s21
	s_branch .LBB5_3
.LBB5_2:                                ;   in Loop: Header=BB5_3 Depth=1
	s_wait_xcnt 0x0
	s_or_b32 exec_lo, exec_lo, s21
	s_add_nc_u64 s[14:15], s[14:15], s[16:17]
	v_add_nc_u64_e32 v[0:1], s[10:11], v[0:1]
	v_cmp_ge_u64_e64 s21, s[14:15], s[12:13]
	s_add_nc_u64 s[8:9], s[8:9], s[18:19]
	s_and_b32 vcc_lo, exec_lo, s21
	s_cbranch_vccnz .LBB5_12
.LBB5_3:                                ; =>This Inner Loop Header: Depth=1
	v_mov_b32_e32 v5, 0
	s_and_saveexec_b32 s21, s3
	s_cbranch_execz .LBB5_5
; %bb.4:                                ;   in Loop: Header=BB5_3 Depth=1
	v_add_nc_u64_e32 v[6:7], s[4:5], v[0:1]
	v_add_nc_u64_e32 v[8:9], s[6:7], v[0:1]
	global_load_b32 v5, v[6:7], off
	global_load_b32 v10, v[8:9], off
	s_wait_loadcnt 0x0
	v_mul_f32_e32 v5, v5, v10
	s_delay_alu instid0(VALU_DEP_1)
	v_mul_f32_e32 v5, s20, v5
.LBB5_5:                                ;   in Loop: Header=BB5_3 Depth=1
	s_wait_xcnt 0x0
	s_or_b32 exec_lo, exec_lo, s21
	ds_swizzle_b32 v6, v5 offset:swizzle(SWAP,1)
	s_wait_dscnt 0x0
	v_add_f32_e32 v5, v5, v6
	ds_swizzle_b32 v6, v5 offset:swizzle(SWAP,2)
	s_wait_dscnt 0x0
	v_add_f32_e32 v5, v5, v6
	;; [unrolled: 3-line block ×4, first 2 shown]
	ds_swizzle_b32 v6, v5 offset:swizzle(SWAP,16)
	s_and_saveexec_b32 s21, s2
	s_cbranch_execz .LBB5_7
; %bb.6:                                ;   in Loop: Header=BB5_3 Depth=1
	s_wait_dscnt 0x0
	v_add_f32_e32 v5, v5, v6
	ds_store_b32 v4, v5
.LBB5_7:                                ;   in Loop: Header=BB5_3 Depth=1
	s_or_b32 exec_lo, exec_lo, s21
	s_wait_dscnt 0x0
	s_barrier_signal -1
	s_barrier_wait -1
	s_and_saveexec_b32 s21, s0
	s_cbranch_execz .LBB5_10
; %bb.8:                                ;   in Loop: Header=BB5_3 Depth=1
	ds_load_b32 v5, v2
	s_wait_dscnt 0x0
	ds_swizzle_b32 v6, v5 offset:swizzle(BITMASK_PERM,"0000i")
	s_and_b32 exec_lo, exec_lo, s1
	s_cbranch_execz .LBB5_10
; %bb.9:                                ;   in Loop: Header=BB5_3 Depth=1
	s_wait_dscnt 0x0
	v_add_f32_e32 v5, v5, v6
	ds_store_b32 v3, v5
.LBB5_10:                               ;   in Loop: Header=BB5_3 Depth=1
	s_or_b32 exec_lo, exec_lo, s21
	s_wait_dscnt 0x0
	s_barrier_signal -1
	s_barrier_wait -1
	s_and_saveexec_b32 s21, s1
	s_cbranch_execz .LBB5_2
; %bb.11:                               ;   in Loop: Header=BB5_3 Depth=1
	ds_load_b32 v5, v3
	s_wait_dscnt 0x0
	global_store_b32 v3, v5, s[8:9]
	s_branch .LBB5_2
.LBB5_12:
	s_endpgm
	.section	.rodata,"a",@progbits
	.p2align	6, 0x0
	.amdhsa_kernel ScaleRowReduceBlock
		.amdhsa_group_segment_fixed_size 8
		.amdhsa_private_segment_fixed_size 0
		.amdhsa_kernarg_size 320
		.amdhsa_user_sgpr_count 2
		.amdhsa_user_sgpr_dispatch_ptr 0
		.amdhsa_user_sgpr_queue_ptr 0
		.amdhsa_user_sgpr_kernarg_segment_ptr 1
		.amdhsa_user_sgpr_dispatch_id 0
		.amdhsa_user_sgpr_kernarg_preload_length 0
		.amdhsa_user_sgpr_kernarg_preload_offset 0
		.amdhsa_user_sgpr_private_segment_size 0
		.amdhsa_wavefront_size32 1
		.amdhsa_uses_dynamic_stack 0
		.amdhsa_enable_private_segment 0
		.amdhsa_system_sgpr_workgroup_id_x 1
		.amdhsa_system_sgpr_workgroup_id_y 0
		.amdhsa_system_sgpr_workgroup_id_z 0
		.amdhsa_system_sgpr_workgroup_info 0
		.amdhsa_system_vgpr_workitem_id 0
		.amdhsa_next_free_vgpr 11
		.amdhsa_next_free_sgpr 27
		.amdhsa_named_barrier_count 0
		.amdhsa_reserve_vcc 1
		.amdhsa_float_round_mode_32 0
		.amdhsa_float_round_mode_16_64 0
		.amdhsa_float_denorm_mode_32 3
		.amdhsa_float_denorm_mode_16_64 3
		.amdhsa_fp16_overflow 0
		.amdhsa_memory_ordered 1
		.amdhsa_forward_progress 1
		.amdhsa_inst_pref_size 5
		.amdhsa_round_robin_scheduling 0
		.amdhsa_exception_fp_ieee_invalid_op 0
		.amdhsa_exception_fp_denorm_src 0
		.amdhsa_exception_fp_ieee_div_zero 0
		.amdhsa_exception_fp_ieee_overflow 0
		.amdhsa_exception_fp_ieee_underflow 0
		.amdhsa_exception_fp_ieee_inexact 0
		.amdhsa_exception_int_div_zero 0
	.end_amdhsa_kernel
	.text
.Lfunc_end5:
	.size	ScaleRowReduceBlock, .Lfunc_end5-ScaleRowReduceBlock
                                        ; -- End function
	.set ScaleRowReduceBlock.num_vgpr, 11
	.set ScaleRowReduceBlock.num_agpr, 0
	.set ScaleRowReduceBlock.numbered_sgpr, 27
	.set ScaleRowReduceBlock.num_named_barrier, 0
	.set ScaleRowReduceBlock.private_seg_size, 0
	.set ScaleRowReduceBlock.uses_vcc, 1
	.set ScaleRowReduceBlock.uses_flat_scratch, 0
	.set ScaleRowReduceBlock.has_dyn_sized_stack, 0
	.set ScaleRowReduceBlock.has_recursion, 0
	.set ScaleRowReduceBlock.has_indirect_call, 0
	.section	.AMDGPU.csdata,"",@progbits
; Kernel info:
; codeLenInByte = 584
; TotalNumSgprs: 29
; NumVgprs: 11
; ScratchSize: 0
; MemoryBound: 0
; FloatMode: 240
; IeeeMode: 1
; LDSByteSize: 8 bytes/workgroup (compile time only)
; SGPRBlocks: 0
; VGPRBlocks: 0
; NumSGPRsForWavesPerEU: 29
; NumVGPRsForWavesPerEU: 11
; NamedBarCnt: 0
; Occupancy: 16
; WaveLimiterHint : 0
; COMPUTE_PGM_RSRC2:SCRATCH_EN: 0
; COMPUTE_PGM_RSRC2:USER_SGPR: 2
; COMPUTE_PGM_RSRC2:TRAP_HANDLER: 0
; COMPUTE_PGM_RSRC2:TGID_X_EN: 1
; COMPUTE_PGM_RSRC2:TGID_Y_EN: 0
; COMPUTE_PGM_RSRC2:TGID_Z_EN: 0
; COMPUTE_PGM_RSRC2:TIDIG_COMP_CNT: 0
	.text
	.protected	ScaleRowReduceCommon    ; -- Begin function ScaleRowReduceCommon
	.globl	ScaleRowReduceCommon
	.p2align	8
	.type	ScaleRowReduceCommon,@function
ScaleRowReduceCommon:                   ; @ScaleRowReduceCommon
; %bb.0:
	s_load_b64 s[6:7], s[0:1], 0x38
	s_bfe_u32 s2, ttmp6, 0x4000c
	s_and_b32 s3, ttmp6, 15
	s_add_co_i32 s2, s2, 1
	s_getreg_b32 s4, hwreg(HW_REG_IB_STS2, 6, 4)
	s_mul_i32 s2, ttmp9, s2
	s_mov_b32 s17, 0
	s_add_co_i32 s3, s3, s2
	s_cmp_eq_u32 s4, 0
	s_cselect_b32 s16, ttmp9, s3
	s_wait_kmcnt 0x0
	v_cmp_le_u64_e64 s2, s[6:7], s[16:17]
	s_and_b32 vcc_lo, exec_lo, s2
	s_cbranch_vccnz .LBB6_16
; %bb.1:
	s_clause 0x2
	s_load_b256 s[8:15], s[0:1], 0x0
	s_load_b128 s[24:27], s[0:1], 0x20
	s_load_b32 s2, s[0:1], 0x4c
	s_mov_b64 s[18:19], s[16:17]
	v_dual_mov_b32 v2, 0 :: v_dual_lshrrev_b32 v4, 3, v0
	s_clause 0x1
	s_load_b32 s16, s[0:1], 0x30
	s_load_b32 s20, s[0:1], 0x40
	s_wait_kmcnt 0x0
	s_load_b32 s3, s[14:15], 0x0
	s_load_b32 s4, s[24:25], 0x0
	;; [unrolled: 1-line block ×3, first 2 shown]
	s_and_b32 s5, s2, 0xffff
	s_delay_alu instid0(SALU_CYCLE_1) | instskip(NEXT) | instid1(VALU_DEP_1)
	v_dual_add_nc_u32 v1, s5, v0 :: v_dual_bitop2_b32 v3, 31, v0 bitop3:0x40
	v_cmp_eq_u32_e64 s0, 0, v3
	v_and_b32_e32 v3, 4, v4
	v_lshlrev_b32_e32 v4, 2, v0
	v_cmp_gt_u32_e64 s1, s16, v0
	v_cmp_gt_u32_e64 s2, s16, v1
	s_wait_kmcnt 0x0
	s_mul_f32 s14, s3, s4
	s_sub_f32 s15, 1.0, s21
	v_cmp_gt_u32_e64 s3, 2, v0
	v_cmp_eq_u32_e64 s4, 0, v0
	s_mov_b32 s21, s17
	s_mul_f32 s24, s14, s15
	s_branch .LBB6_3
.LBB6_2:                                ;   in Loop: Header=BB6_3 Depth=1
	s_wait_xcnt 0x0
	s_or_b32 exec_lo, exec_lo, s14
	s_add_nc_u64 s[18:19], s[18:19], s[20:21]
	s_delay_alu instid0(SALU_CYCLE_1)
	v_cmp_ge_u64_e64 s14, s[18:19], s[6:7]
	s_and_b32 vcc_lo, exec_lo, s14
	s_cbranch_vccnz .LBB6_16
.LBB6_3:                                ; =>This Loop Header: Depth=1
                                        ;     Child Loop BB6_7 Depth 2
	s_mul_u64 s[14:15], s[18:19], s[16:17]
	v_mov_b32_e32 v5, 0
	s_lshl_b64 s[22:23], s[14:15], 2
	s_delay_alu instid0(SALU_CYCLE_1)
	s_add_nc_u64 s[14:15], s[8:9], s[22:23]
	s_add_nc_u64 s[22:23], s[10:11], s[22:23]
	s_and_saveexec_b32 s25, s1
	s_cbranch_execz .LBB6_5
; %bb.4:                                ;   in Loop: Header=BB6_3 Depth=1
	s_clause 0x1
	global_load_b32 v5, v0, s[14:15] scale_offset
	global_load_b32 v6, v0, s[22:23] scale_offset
	s_wait_loadcnt 0x0
	v_mul_f32_e32 v5, v5, v6
	s_delay_alu instid0(VALU_DEP_1)
	v_mul_f32_e32 v5, s24, v5
.LBB6_5:                                ;   in Loop: Header=BB6_3 Depth=1
	s_wait_xcnt 0x0
	s_or_b32 exec_lo, exec_lo, s25
	s_and_saveexec_b32 s25, s2
	s_cbranch_execz .LBB6_9
; %bb.6:                                ;   in Loop: Header=BB6_3 Depth=1
	v_mov_b32_e32 v6, v1
	s_mov_b32 s26, 0
.LBB6_7:                                ;   Parent Loop BB6_3 Depth=1
                                        ; =>  This Inner Loop Header: Depth=2
	s_clause 0x1
	global_load_b32 v7, v6, s[14:15] scale_offset
	global_load_b32 v8, v6, s[22:23] scale_offset
	s_wait_loadcnt 0x0
	s_wait_xcnt 0x0
	v_dual_mul_f32 v7, v7, v8 :: v_dual_add_nc_u32 v6, s5, v6
	s_delay_alu instid0(VALU_DEP_1) | instskip(NEXT) | instid1(VALU_DEP_2)
	v_cmp_le_u32_e32 vcc_lo, s16, v6
	v_fmac_f32_e32 v5, s24, v7
	s_or_b32 s26, vcc_lo, s26
	s_delay_alu instid0(SALU_CYCLE_1)
	s_and_not1_b32 exec_lo, exec_lo, s26
	s_cbranch_execnz .LBB6_7
; %bb.8:                                ;   in Loop: Header=BB6_3 Depth=1
	s_or_b32 exec_lo, exec_lo, s26
.LBB6_9:                                ;   in Loop: Header=BB6_3 Depth=1
	s_delay_alu instid0(SALU_CYCLE_1)
	s_or_b32 exec_lo, exec_lo, s25
	ds_swizzle_b32 v6, v5 offset:swizzle(SWAP,1)
	s_wait_dscnt 0x0
	v_add_f32_e32 v5, v5, v6
	ds_swizzle_b32 v6, v5 offset:swizzle(SWAP,2)
	s_wait_dscnt 0x0
	v_add_f32_e32 v5, v5, v6
	;; [unrolled: 3-line block ×4, first 2 shown]
	ds_swizzle_b32 v6, v5 offset:swizzle(SWAP,16)
	s_and_saveexec_b32 s14, s0
	s_cbranch_execz .LBB6_11
; %bb.10:                               ;   in Loop: Header=BB6_3 Depth=1
	s_wait_dscnt 0x0
	v_add_f32_e32 v5, v5, v6
	ds_store_b32 v3, v5
.LBB6_11:                               ;   in Loop: Header=BB6_3 Depth=1
	s_or_b32 exec_lo, exec_lo, s14
	s_wait_dscnt 0x0
	s_barrier_signal -1
	s_barrier_wait -1
	s_and_saveexec_b32 s14, s3
	s_cbranch_execz .LBB6_14
; %bb.12:                               ;   in Loop: Header=BB6_3 Depth=1
	ds_load_b32 v5, v4
	s_wait_dscnt 0x0
	ds_swizzle_b32 v6, v5 offset:swizzle(BITMASK_PERM,"0000i")
	s_and_b32 exec_lo, exec_lo, s4
	s_cbranch_execz .LBB6_14
; %bb.13:                               ;   in Loop: Header=BB6_3 Depth=1
	s_wait_dscnt 0x0
	v_add_f32_e32 v5, v5, v6
	ds_store_b32 v2, v5
.LBB6_14:                               ;   in Loop: Header=BB6_3 Depth=1
	s_or_b32 exec_lo, exec_lo, s14
	s_wait_dscnt 0x0
	s_barrier_signal -1
	s_barrier_wait -1
	s_and_saveexec_b32 s14, s4
	s_cbranch_execz .LBB6_2
; %bb.15:                               ;   in Loop: Header=BB6_3 Depth=1
	ds_load_b32 v5, v2
	s_lshl_b64 s[22:23], s[18:19], 2
	s_delay_alu instid0(SALU_CYCLE_1)
	s_add_nc_u64 s[22:23], s[12:13], s[22:23]
	s_wait_dscnt 0x0
	global_store_b32 v2, v5, s[22:23]
	s_branch .LBB6_2
.LBB6_16:
	s_endpgm
	.section	.rodata,"a",@progbits
	.p2align	6, 0x0
	.amdhsa_kernel ScaleRowReduceCommon
		.amdhsa_group_segment_fixed_size 8
		.amdhsa_private_segment_fixed_size 0
		.amdhsa_kernarg_size 320
		.amdhsa_user_sgpr_count 2
		.amdhsa_user_sgpr_dispatch_ptr 0
		.amdhsa_user_sgpr_queue_ptr 0
		.amdhsa_user_sgpr_kernarg_segment_ptr 1
		.amdhsa_user_sgpr_dispatch_id 0
		.amdhsa_user_sgpr_kernarg_preload_length 0
		.amdhsa_user_sgpr_kernarg_preload_offset 0
		.amdhsa_user_sgpr_private_segment_size 0
		.amdhsa_wavefront_size32 1
		.amdhsa_uses_dynamic_stack 0
		.amdhsa_enable_private_segment 0
		.amdhsa_system_sgpr_workgroup_id_x 1
		.amdhsa_system_sgpr_workgroup_id_y 0
		.amdhsa_system_sgpr_workgroup_id_z 0
		.amdhsa_system_sgpr_workgroup_info 0
		.amdhsa_system_vgpr_workitem_id 0
		.amdhsa_next_free_vgpr 9
		.amdhsa_next_free_sgpr 28
		.amdhsa_named_barrier_count 0
		.amdhsa_reserve_vcc 1
		.amdhsa_float_round_mode_32 0
		.amdhsa_float_round_mode_16_64 0
		.amdhsa_float_denorm_mode_32 3
		.amdhsa_float_denorm_mode_16_64 3
		.amdhsa_fp16_overflow 0
		.amdhsa_memory_ordered 1
		.amdhsa_forward_progress 1
		.amdhsa_inst_pref_size 6
		.amdhsa_round_robin_scheduling 0
		.amdhsa_exception_fp_ieee_invalid_op 0
		.amdhsa_exception_fp_denorm_src 0
		.amdhsa_exception_fp_ieee_div_zero 0
		.amdhsa_exception_fp_ieee_overflow 0
		.amdhsa_exception_fp_ieee_underflow 0
		.amdhsa_exception_fp_ieee_inexact 0
		.amdhsa_exception_int_div_zero 0
	.end_amdhsa_kernel
	.text
.Lfunc_end6:
	.size	ScaleRowReduceCommon, .Lfunc_end6-ScaleRowReduceCommon
                                        ; -- End function
	.set ScaleRowReduceCommon.num_vgpr, 9
	.set ScaleRowReduceCommon.num_agpr, 0
	.set ScaleRowReduceCommon.numbered_sgpr, 28
	.set ScaleRowReduceCommon.num_named_barrier, 0
	.set ScaleRowReduceCommon.private_seg_size, 0
	.set ScaleRowReduceCommon.uses_vcc, 1
	.set ScaleRowReduceCommon.uses_flat_scratch, 0
	.set ScaleRowReduceCommon.has_dyn_sized_stack, 0
	.set ScaleRowReduceCommon.has_recursion, 0
	.set ScaleRowReduceCommon.has_indirect_call, 0
	.section	.AMDGPU.csdata,"",@progbits
; Kernel info:
; codeLenInByte = 704
; TotalNumSgprs: 30
; NumVgprs: 9
; ScratchSize: 0
; MemoryBound: 0
; FloatMode: 240
; IeeeMode: 1
; LDSByteSize: 8 bytes/workgroup (compile time only)
; SGPRBlocks: 0
; VGPRBlocks: 0
; NumSGPRsForWavesPerEU: 30
; NumVGPRsForWavesPerEU: 9
; NamedBarCnt: 0
; Occupancy: 16
; WaveLimiterHint : 0
; COMPUTE_PGM_RSRC2:SCRATCH_EN: 0
; COMPUTE_PGM_RSRC2:USER_SGPR: 2
; COMPUTE_PGM_RSRC2:TRAP_HANDLER: 0
; COMPUTE_PGM_RSRC2:TGID_X_EN: 1
; COMPUTE_PGM_RSRC2:TGID_Y_EN: 0
; COMPUTE_PGM_RSRC2:TGID_Z_EN: 0
; COMPUTE_PGM_RSRC2:TIDIG_COMP_CNT: 0
	.text
	.protected	BwdAttentionWarp        ; -- Begin function BwdAttentionWarp
	.globl	BwdAttentionWarp
	.p2align	8
	.type	BwdAttentionWarp,@function
BwdAttentionWarp:                       ; @BwdAttentionWarp
; %bb.0:
	s_clause 0x2
	s_load_b64 s[4:5], s[2:3], 0x78
	s_load_b256 s[36:43], s[2:3], 0x58
	s_load_b256 s[20:27], s[2:3], 0x38
	s_mov_b32 s33, 0
	s_wait_kmcnt 0x0
	s_cmp_eq_u64 s[4:5], 0
	s_cselect_b32 s6, -1, 0
	s_cmp_eq_u64 s[40:41], 0
	s_cselect_b32 s7, -1, 0
	s_delay_alu instid0(SALU_CYCLE_1) | instskip(SKIP_2) | instid1(SALU_CYCLE_1)
	s_or_b32 s6, s7, s6
	s_cmp_eq_u64 s[42:43], 0
	s_cselect_b32 s7, -1, 0
	s_or_b32 s6, s7, s6
	s_delay_alu instid0(SALU_CYCLE_1)
	s_and_b32 vcc_lo, exec_lo, s6
	s_cbranch_vccnz .LBB7_2
; %bb.1:
	s_load_b32 s33, s[4:5], 0x0
.LBB7_2:
	s_load_b64 s[28:29], s[2:3], 0x30
	s_wait_kmcnt 0x0
	s_cmp_gt_f32 s33, 0
	s_getreg_b32 s6, hwreg(HW_REG_IB_STS2, 6, 4)
	v_and_b32_e32 v16, 0x3ff, v0
	s_cselect_b32 s50, -1, 0
	s_bfe_u32 s4, ttmp6, 0x4000c
	s_and_b32 s5, ttmp6, 15
	s_add_co_i32 s4, s4, 1
	s_delay_alu instid0(SALU_CYCLE_1) | instskip(NEXT) | instid1(SALU_CYCLE_1)
	s_mul_i32 s4, ttmp9, s4
	s_add_co_i32 s5, s5, s4
	s_cmp_eq_u32 s6, 0
	s_cselect_b32 s51, ttmp9, s5
	s_cmp_ngt_f32 s33, 0
	s_cbranch_scc1 .LBB7_11
; %bb.3:
	s_load_b32 s6, s[2:3], 0x9c
	s_load_b64 s[4:5], s[40:41], 0x0
	v_mov_b32_e32 v3, 0
	v_bfe_u32 v1, v0, 10, 10
	v_bfe_u32 v0, v0, 20, 10
	s_wait_kmcnt 0x0
	s_and_b32 s6, s6, 0xffff
	s_delay_alu instid0(SALU_CYCLE_1) | instskip(NEXT) | instid1(VALU_DEP_1)
	v_mad_u32 v2, s51, s6, v16
	v_add_nc_u64_e32 v[2:3], s[4:5], v[2:3]
	s_load_b64 s[4:5], s[0:1], 0x4
	s_delay_alu instid0(VALU_DEP_1) | instskip(SKIP_2) | instid1(VALU_DEP_1)
	v_lshrrev_b64 v[4:5], 30, v[2:3]
	s_wait_xcnt 0x0
	s_load_b64 s[0:1], s[42:43], 0x0
	v_xor_b32_e32 v3, v5, v3
	s_delay_alu instid0(VALU_DEP_2) | instskip(NEXT) | instid1(VALU_DEP_1)
	v_xor_b32_e32 v2, v4, v2
	v_mul_u64_e32 v[2:3], 0xbf58476d1ce4e5b9, v[2:3]
	s_wait_kmcnt 0x0
	s_lshr_b32 s4, s4, 16
	v_mul_u32_u24_e32 v1, s5, v1
	s_mul_i32 s4, s4, s5
	s_delay_alu instid0(SALU_CYCLE_1) | instskip(SKIP_1) | instid1(VALU_DEP_1)
	v_mul_u32_u24_e32 v6, s4, v16
	s_cmp_eq_u64 s[0:1], 0
	v_add3_u32 v0, v6, v1, v0
	s_delay_alu instid0(VALU_DEP_1) | instskip(SKIP_1) | instid1(VALU_DEP_1)
	v_mul_lo_u32 v6, v0, 48
	v_lshrrev_b64 v[4:5], 27, v[2:3]
	v_xor_b32_e32 v3, v5, v3
	s_delay_alu instid0(VALU_DEP_2) | instskip(NEXT) | instid1(VALU_DEP_1)
	v_xor_b32_e32 v2, v4, v2
	v_mul_u64_e32 v[2:3], 0x94d049bb133111eb, v[2:3]
	s_delay_alu instid0(VALU_DEP_1) | instskip(NEXT) | instid1(VALU_DEP_1)
	v_lshrrev_b64 v[4:5], 31, v[2:3]
	v_xor_b32_e32 v2, v4, v2
	s_delay_alu instid0(VALU_DEP_2) | instskip(NEXT) | instid1(VALU_DEP_2)
	v_xor_b32_e32 v3, v5, v3
	v_xor_b32_e32 v2, 0x2c7f967f, v2
	s_delay_alu instid0(VALU_DEP_2) | instskip(NEXT) | instid1(VALU_DEP_2)
	v_xor_b32_e32 v3, 0xa03697cb, v3
	v_mul_lo_u32 v4, 0x493c4aa1, v2
	s_delay_alu instid0(VALU_DEP_2) | instskip(NEXT) | instid1(VALU_DEP_2)
	v_mul_lo_u32 v5, 0x7b99840d, v3
	v_add_nc_u32_e32 v0, 0x75bcd15, v4
	v_xor_b32_e32 v1, 0x159a55e5, v4
	s_delay_alu instid0(VALU_DEP_3)
	v_add_nc_u32_e32 v2, 0x1f123bb5, v5
	v_xor_b32_e32 v3, 0x5491333, v5
	v_add_nc_u32_e32 v17, 0x583f19, v4
	ds_store_2addr_b64 v6, v[0:1], v[2:3] offset0:4 offset1:5
	ds_store_b32 v6, v17 offset:48
	s_cbranch_scc1 .LBB7_12
; %bb.4:
	v_or_b32_e32 v6, 8, v6
	s_mov_b64 s[34:35], s[0:1]
	s_get_pc_i64 s[30:31]
	s_add_nc_u64 s[30:31], s[30:31], _ZL22d_xorwow_jump_matrices@rel64+4
	s_branch .LBB7_6
.LBB7_5:                                ;   in Loop: Header=BB7_6 Depth=1
	v_cmp_lt_u64_e64 s1, s[34:35], 4
	s_lshr_b64 s[34:35], s[34:35], 2
	s_add_nc_u64 s[30:31], s[30:31], 0xc80
	s_and_b32 vcc_lo, exec_lo, s1
	s_cbranch_vccnz .LBB7_12
.LBB7_6:                                ; =>This Loop Header: Depth=1
                                        ;     Child Loop BB7_8 Depth 2
                                        ;       Child Loop BB7_9 Depth 3
	s_and_b32 s1, s34, 3
	s_delay_alu instid0(SALU_CYCLE_1)
	s_cmp_eq_u32 s1, 0
	s_cbranch_scc1 .LBB7_5
; %bb.7:                                ;   in Loop: Header=BB7_6 Depth=1
	s_mov_b32 s52, 0
.LBB7_8:                                ;   Parent Loop BB7_6 Depth=1
                                        ; =>  This Loop Header: Depth=2
                                        ;       Child Loop BB7_9 Depth 3
	v_dual_mov_b32 v0, 0 :: v_dual_mov_b32 v1, 0
	v_dual_mov_b32 v2, 0 :: v_dual_mov_b32 v3, 0
	v_mov_b32_e32 v17, 0
	s_mov_b32 s53, 4
	s_mov_b64 s[48:49], s[30:31]
.LBB7_9:                                ;   Parent Loop BB7_6 Depth=1
                                        ;     Parent Loop BB7_8 Depth=2
                                        ; =>    This Inner Loop Header: Depth=3
	s_add_co_i32 s54, s53, -4
	s_add_co_i32 s55, s53, -3
	;; [unrolled: 1-line block ×3, first 2 shown]
	s_lshr_b32 s59, s53, 3
	s_lshr_b32 s60, s54, 3
	s_add_co_i32 s57, s53, -1
	s_lshr_b32 s61, s55, 3
	s_lshr_b32 s62, s56, 3
	s_and_b32 s59, s59, 0x1ffffffc
	s_and_b32 s60, s60, 0x1ffffffc
	s_lshr_b32 s63, s57, 3
	s_and_b32 s61, s61, 0x1ffffffc
	s_and_b32 s62, s62, 0x1ffffffc
	v_dual_add_nc_u32 v7, s59, v6 :: v_dual_add_nc_u32 v8, s60, v6
	s_and_b32 s63, s63, 0x1ffffffc
	v_dual_add_nc_u32 v9, s61, v6 :: v_dual_add_nc_u32 v10, s62, v6
	v_add_nc_u32_e32 v11, s63, v6
	s_clause 0x2
	s_load_b512 s[4:19], s[48:49], 0x0
	s_load_b32 s58, s[48:49], 0x60
	s_load_b256 s[40:47], s[48:49], 0x40
	ds_load_b32 v8, v8 offset:24
	ds_load_b32 v9, v9 offset:24
	;; [unrolled: 1-line block ×5, first 2 shown]
	s_wait_xcnt 0x0
	s_add_nc_u64 s[48:49], s[48:49], 0x64
	s_wait_dscnt 0x3
	v_dual_lshrrev_b32 v8, s54, v8 :: v_dual_lshrrev_b32 v9, s55, v9
	s_wait_dscnt 0x2
	v_lshrrev_b32_e32 v10, s56, v10
	s_delay_alu instid0(VALU_DEP_2) | instskip(NEXT) | instid1(VALU_DEP_3)
	v_bfe_i32 v8, v8, 0, 1
	v_bfe_i32 v9, v9, 0, 1
	s_wait_dscnt 0x1
	v_lshrrev_b32_e32 v11, s57, v11
	s_wait_dscnt 0x0
	v_lshrrev_b32_e32 v7, s53, v7
	v_bfe_i32 v10, v10, 0, 1
	s_wait_kmcnt 0x0
	v_bitop3_b32 v0, v8, v0, s4 bitop3:0x6c
	v_bitop3_b32 v1, v8, v1, s5 bitop3:0x6c
	;; [unrolled: 1-line block ×5, first 2 shown]
	v_and_b32_e32 v12, s9, v9
	v_bfe_i32 v11, v11, 0, 1
	v_and_b32_e32 v13, s10, v9
	v_bfe_i32 v7, v7, 0, 1
	v_and_b32_e32 v14, s11, v9
	v_and_b32_e32 v15, s12, v9
	;; [unrolled: 1-line block ×18, first 2 shown]
	v_xor3_b32 v0, v12, v0, v17
	v_xor3_b32 v1, v13, v1, v18
	;; [unrolled: 1-line block ×10, first 2 shown]
	s_add_co_i32 s53, s53, 5
	s_delay_alu instid0(SALU_CYCLE_1)
	s_cmp_lg_u32 s53, 0xa4
	s_cbranch_scc1 .LBB7_9
; %bb.10:                               ;   in Loop: Header=BB7_8 Depth=2
	s_add_co_i32 s52, s52, 1
	ds_store_2addr_b64 v6, v[0:1], v[2:3] offset0:3 offset1:4
	ds_store_b32 v6, v17 offset:40
	s_cmp_eq_u32 s52, s1
	s_cbranch_scc0 .LBB7_8
	s_branch .LBB7_5
.LBB7_11:
	v_mov_b32_e32 v17, 0x5ada9af8
	v_mov_b32_e32 v3, 0x8f14727c
	;; [unrolled: 1-line block ×6, first 2 shown]
	s_branch .LBB7_13
.LBB7_12:
	s_mul_i32 s0, s0, 0x587c5
	s_delay_alu instid0(SALU_CYCLE_1) | instskip(NEXT) | instid1(SALU_CYCLE_1)
	s_add_co_i32 s0, s0, 0x64f0c9
	v_add3_u32 v18, s0, v4, v5
.LBB7_13:
	s_clause 0x2
	s_load_b64 s[16:17], s[2:3], 0x0
	s_load_b128 s[4:7], s[2:3], 0x18
	s_load_b64 s[18:19], s[2:3], 0x28
	s_load_b32 s1, s[20:21], 0x0
	s_load_b32 s35, s[22:23], 0x0
	;; [unrolled: 1-line block ×6, first 2 shown]
                                        ; kill: killed $sgpr36_sgpr37_sgpr38_sgpr39
                                        ; kill: killed $sgpr20_sgpr21_sgpr22_sgpr23_sgpr24_sgpr25_sgpr26 killed $sgpr27
	s_load_b128 s[8:11], s[2:3], 0x80
	v_dual_lshrrev_b32 v19, 5, v16 :: v_dual_mov_b32 v7, 0
	v_and_b32_e32 v4, 31, v16
	s_delay_alu instid0(VALU_DEP_2) | instskip(SKIP_1) | instid1(VALU_DEP_1)
	v_lshl_add_u32 v6, s51, 1, v19
	s_wait_kmcnt 0x0
	v_cmp_gt_u64_e32 vcc_lo, s[10:11], v[6:7]
	s_delay_alu instid0(VALU_DEP_3) | instskip(SKIP_1) | instid1(SALU_CYCLE_1)
	v_cmp_gt_u32_e64 s0, s9, v4
	s_and_b32 s0, s0, vcc_lo
	s_and_saveexec_b32 s24, s0
	s_cbranch_execz .LBB7_22
; %bb.14:
	s_sub_f32 s22, 1.0, s33
	s_clause 0x1
	s_load_b32 s20, s[2:3], 0x90
	s_load_b128 s[12:15], s[2:3], 0x8
	v_mov_b64_e32 v[8:9], v[6:7]
	v_div_scale_f32 v5, null, s22, s22, 1.0
	v_div_scale_f32 v15, vcc_lo, 1.0, s22, 1.0
	s_mul_f32 s25, s1, s35
	v_rcp_f32_e32 v14, v5
	v_xor_b32_e32 v10, 0x80000000, v5
	s_mul_f32 s23, s34, s40
	s_mov_b32 s1, 0
	s_mov_b32 s0, s9
	s_wait_xcnt 0x0
	s_mov_b32 s3, s1
	v_fma_f32 v5, v10, v14, 1.0
	s_wait_kmcnt 0x0
	s_lshl_b32 s2, s20, 1
	s_delay_alu instid0(VALU_DEP_1) | instskip(SKIP_3) | instid1(VALU_DEP_1)
	v_fmac_f32_e32 v14, v5, v14
	s_mul_u64 s[20:21], s[0:1], s[2:3]
	s_mul_f32 s0, s22, s23
	s_lshl_b64 s[20:21], s[20:21], 2
	v_dual_mov_b32 v5, 0 :: v_dual_mul_f32 v20, v15, v14
	s_delay_alu instid0(VALU_DEP_1) | instskip(NEXT) | instid1(VALU_DEP_2)
	v_mad_nc_u64_u32 v[12:13], s9, v6, v[4:5]
	v_fma_f32 v11, v10, v20, v15
	s_delay_alu instid0(VALU_DEP_1) | instskip(NEXT) | instid1(VALU_DEP_1)
	v_fmac_f32_e32 v20, v11, v14
	v_fmac_f32_e32 v15, v10, v20
	v_lshlrev_b64_e32 v[10:11], 2, v[6:7]
	v_mov_b32_e32 v7, v5
	v_lshlrev_b64_e32 v[12:13], 2, v[12:13]
	s_delay_alu instid0(VALU_DEP_4) | instskip(NEXT) | instid1(VALU_DEP_1)
	v_div_fmas_f32 v6, v15, v14, v20
	v_div_fixup_f32 v6, v6, s22, 1.0
	s_lshl_b64 s[22:23], s[2:3], 2
	s_branch .LBB7_16
.LBB7_15:                               ;   in Loop: Header=BB7_16 Depth=1
	s_wait_xcnt 0x0
	s_or_b32 exec_lo, exec_lo, s9
	s_wait_loadcnt 0x2
	v_add_nc_u64_e32 v[22:23], s[12:13], v[12:13]
	v_add_nc_u64_e32 v[8:9], s[2:3], v[8:9]
	;; [unrolled: 1-line block ×3, first 2 shown]
	v_max_num_f32_e32 v7, v7, v7
	s_wait_loadcnt 0x1
	global_load_b32 v21, v[22:23], off
	v_cmp_le_u64_e32 vcc_lo, s[10:11], v[8:9]
	s_or_b32 s1, vcc_lo, s1
	s_wait_loadcnt 0x0
	v_fma_f32 v20, s0, v21, -v20
	s_wait_xcnt 0x0
	s_delay_alu instid0(VALU_DEP_1) | instskip(SKIP_2) | instid1(VALU_DEP_3)
	v_dual_mul_f32 v22, s30, v1 :: v_dual_mul_f32 v23, s8, v20
	v_add_nc_u64_e32 v[20:21], s[14:15], v[12:13]
	v_add_nc_u64_e32 v[12:13], s[20:21], v[12:13]
	v_dual_mul_f32 v23, v1, v23 :: v_dual_mov_b32 v1, v2
	v_dual_mov_b32 v2, v3 :: v_dual_mov_b32 v3, v17
	v_mov_b32_e32 v17, v5
	s_delay_alu instid0(VALU_DEP_3)
	v_max_num_f32_e64 v7, v7, |v23|
	v_mul_f32_e32 v24, s31, v23
	global_store_b32 v[14:15], v22, off
	global_store_b32 v[20:21], v24, off
	s_wait_xcnt 0x0
	s_and_not1_b32 exec_lo, exec_lo, s1
	s_cbranch_execz .LBB7_21
.LBB7_16:                               ; =>This Inner Loop Header: Depth=1
	v_add_nc_u64_e32 v[14:15], s[4:5], v[10:11]
	v_add_nc_u64_e32 v[24:25], s[6:7], v[10:11]
	;; [unrolled: 1-line block ×3, first 2 shown]
	s_and_not1_b32 vcc_lo, exec_lo, s50
	global_load_b32 v22, v[14:15], off
	global_load_b32 v21, v[24:25], off
	global_load_b32 v20, v[26:27], off
	s_cbranch_vccnz .LBB7_18
; %bb.17:                               ;   in Loop: Header=BB7_16 Depth=1
	v_lshrrev_b32_e32 v5, 2, v0
	v_add_nc_u32_e32 v18, 0x587c5, v18
	s_delay_alu instid0(VALU_DEP_2) | instskip(SKIP_1) | instid1(VALU_DEP_1)
	v_dual_lshlrev_b32 v5, 4, v17 :: v_dual_bitop2_b32 v0, v5, v0 bitop3:0x14
	s_wait_xcnt 0x2
	v_lshlrev_b32_e32 v14, 1, v0
	s_delay_alu instid0(VALU_DEP_1) | instskip(NEXT) | instid1(VALU_DEP_1)
	v_xor_b32_e32 v5, v5, v14
	v_xor3_b32 v5, v5, v17, v0
	s_delay_alu instid0(VALU_DEP_1) | instskip(NEXT) | instid1(VALU_DEP_1)
	v_add_nc_u32_e32 v0, v5, v18
	v_cvt_f32_u32_e32 v0, v0
	s_delay_alu instid0(VALU_DEP_1) | instskip(NEXT) | instid1(VALU_DEP_1)
	v_fmaak_f32 v0, 0x2f800000, v0, 0x2f800000
	v_cmp_gt_f32_e32 vcc_lo, s33, v0
	v_mov_b32_e32 v0, v1
	s_and_b32 s9, vcc_lo, exec_lo
	s_branch .LBB7_19
.LBB7_18:                               ;   in Loop: Header=BB7_16 Depth=1
	v_dual_mov_b32 v5, v17 :: v_dual_mov_b32 v17, v3
	v_dual_mov_b32 v3, v2 :: v_dual_mov_b32 v2, v1
	s_mov_b32 s9, 0
.LBB7_19:                               ;   in Loop: Header=BB7_16 Depth=1
	s_wait_xcnt 0x2
	v_add_nc_u64_e32 v[14:15], s[16:17], v[12:13]
	v_mov_b32_e32 v1, 0
	s_xor_b32 s26, s9, -1
	s_wait_xcnt 0x0
	s_and_saveexec_b32 s9, s26
	s_cbranch_execz .LBB7_15
; %bb.20:                               ;   in Loop: Header=BB7_16 Depth=1
	global_load_b32 v1, v[14:15], off
	s_wait_loadcnt 0x0
	v_fma_f32 v1, s25, v1, -v22
	s_delay_alu instid0(VALU_DEP_1) | instskip(NEXT) | instid1(VALU_DEP_1)
	v_mul_f32_e32 v22, 0x3fb8aa3b, v1
	v_fma_f32 v23, 0x3fb8aa3b, v1, -v22
	v_rndne_f32_e32 v24, v22
	s_delay_alu instid0(VALU_DEP_1) | instskip(SKIP_1) | instid1(VALU_DEP_4)
	v_sub_f32_e32 v22, v22, v24
	v_cmp_ngt_f32_e32 vcc_lo, 0xc2ce8ed0, v1
	v_fmac_f32_e32 v23, 0x32a5705f, v1
	s_delay_alu instid0(VALU_DEP_1) | instskip(SKIP_1) | instid1(VALU_DEP_2)
	v_add_f32_e32 v22, v22, v23
	v_cvt_i32_f32_e32 v23, v24
	v_exp_f32_e32 v22, v22
	v_nop
	s_delay_alu instid0(TRANS32_DEP_1) | instskip(NEXT) | instid1(VALU_DEP_1)
	v_ldexp_f32 v22, v22, v23
	v_cndmask_b32_e32 v22, 0, v22, vcc_lo
	v_cmp_nlt_f32_e32 vcc_lo, 0x42b17218, v1
	s_delay_alu instid0(VALU_DEP_2) | instskip(NEXT) | instid1(VALU_DEP_1)
	v_cndmask_b32_e32 v1, 0x7f800000, v22, vcc_lo
	v_mul_f32_e32 v1, v21, v1
	s_delay_alu instid0(VALU_DEP_1)
	v_mul_f32_e32 v1, v6, v1
	s_branch .LBB7_15
.LBB7_21:
	s_or_b32 exec_lo, exec_lo, s1
.LBB7_22:
	s_delay_alu instid0(SALU_CYCLE_1)
	s_or_b32 exec_lo, exec_lo, s24
; %bb.23:
	ds_swizzle_b32 v0, v7 offset:swizzle(SWAP,1)
	v_max_num_f32_e32 v1, v7, v7
	s_mov_b32 s0, exec_lo
	s_wait_dscnt 0x0
	v_max_num_f32_e32 v0, v0, v0
	s_delay_alu instid0(VALU_DEP_1) | instskip(SKIP_3) | instid1(VALU_DEP_1)
	v_max_num_f32_e32 v0, v0, v1
	ds_swizzle_b32 v1, v0 offset:swizzle(SWAP,2)
	s_wait_dscnt 0x0
	v_max_num_f32_e32 v1, v1, v1
	v_max_num_f32_e32 v0, v1, v0
	ds_swizzle_b32 v1, v0 offset:swizzle(SWAP,4)
	s_wait_dscnt 0x0
	v_max_num_f32_e32 v1, v1, v1
	s_delay_alu instid0(VALU_DEP_1) | instskip(SKIP_3) | instid1(VALU_DEP_1)
	v_max_num_f32_e32 v0, v1, v0
	ds_swizzle_b32 v1, v0 offset:swizzle(SWAP,8)
	s_wait_dscnt 0x0
	v_max_num_f32_e32 v1, v1, v1
	v_max_num_f32_e32 v0, v1, v0
	ds_swizzle_b32 v1, v0 offset:swizzle(SWAP,16)
	v_cmpx_eq_u32_e32 0, v4
	s_cbranch_execz .LBB7_25
; %bb.24:
	s_wait_dscnt 0x0
	v_dual_max_num_f32 v0, v0, v0 :: v_dual_max_num_f32 v1, v1, v1
	s_delay_alu instid0(VALU_DEP_1)
	v_dual_lshlrev_b32 v2, 2, v19 :: v_dual_max_num_f32 v0, v1, v0
	ds_store_b32 v2, v0
.LBB7_25:
	s_or_b32 exec_lo, exec_lo, s0
	s_delay_alu instid0(SALU_CYCLE_1)
	s_mov_b32 s0, exec_lo
	s_wait_storecnt_dscnt 0x0
	s_barrier_signal -1
	s_barrier_wait -1
	v_cmpx_gt_u32_e32 2, v16
	s_cbranch_execz .LBB7_28
; %bb.26:
	v_lshlrev_b32_e32 v0, 2, v16
	v_cmp_eq_u32_e32 vcc_lo, 0, v16
	ds_load_b32 v0, v0
	s_wait_dscnt 0x0
	ds_swizzle_b32 v1, v0 offset:swizzle(BITMASK_PERM,"0000i")
	s_and_b32 exec_lo, exec_lo, vcc_lo
	s_cbranch_execz .LBB7_28
; %bb.27:
	s_wait_dscnt 0x0
	v_dual_max_num_f32 v0, v0, v0 :: v_dual_max_num_f32 v1, v1, v1
	s_delay_alu instid0(VALU_DEP_1)
	v_dual_max_num_f32 v0, v1, v0 :: v_dual_mov_b32 v1, 0
	ds_store_b32 v1, v0
.LBB7_28:
	s_or_b32 exec_lo, exec_lo, s0
	s_wait_dscnt 0x0
	s_barrier_signal -1
	s_barrier_wait -1
	s_mov_b32 s0, exec_lo
	v_cmpx_eq_u32_e32 0, v16
	s_cbranch_execz .LBB7_31
; %bb.29:
	v_mbcnt_lo_u32_b32 v0, exec_lo, 0
	s_delay_alu instid0(VALU_DEP_1)
	v_cmp_eq_u32_e32 vcc_lo, 0, v0
	s_and_b32 exec_lo, exec_lo, vcc_lo
	s_cbranch_execz .LBB7_31
; %bb.30:
	v_mov_b32_e32 v0, 0
	ds_load_b32 v1, v0
	s_wait_dscnt 0x0
	global_atomic_max_i32 v0, v1, s[28:29] scope:SCOPE_DEV
.LBB7_31:
	s_endpgm
	.section	.rodata,"a",@progbits
	.p2align	6, 0x0
	.amdhsa_kernel BwdAttentionWarp
		.amdhsa_group_segment_fixed_size 3080
		.amdhsa_private_segment_fixed_size 0
		.amdhsa_kernarg_size 400
		.amdhsa_user_sgpr_count 4
		.amdhsa_user_sgpr_dispatch_ptr 1
		.amdhsa_user_sgpr_queue_ptr 0
		.amdhsa_user_sgpr_kernarg_segment_ptr 1
		.amdhsa_user_sgpr_dispatch_id 0
		.amdhsa_user_sgpr_kernarg_preload_length 0
		.amdhsa_user_sgpr_kernarg_preload_offset 0
		.amdhsa_user_sgpr_private_segment_size 0
		.amdhsa_wavefront_size32 1
		.amdhsa_uses_dynamic_stack 0
		.amdhsa_enable_private_segment 0
		.amdhsa_system_sgpr_workgroup_id_x 1
		.amdhsa_system_sgpr_workgroup_id_y 0
		.amdhsa_system_sgpr_workgroup_id_z 0
		.amdhsa_system_sgpr_workgroup_info 0
		.amdhsa_system_vgpr_workitem_id 2
		.amdhsa_next_free_vgpr 29
		.amdhsa_next_free_sgpr 64
		.amdhsa_named_barrier_count 0
		.amdhsa_reserve_vcc 1
		.amdhsa_float_round_mode_32 0
		.amdhsa_float_round_mode_16_64 0
		.amdhsa_float_denorm_mode_32 3
		.amdhsa_float_denorm_mode_16_64 3
		.amdhsa_fp16_overflow 0
		.amdhsa_memory_ordered 1
		.amdhsa_forward_progress 1
		.amdhsa_inst_pref_size 19
		.amdhsa_round_robin_scheduling 0
		.amdhsa_exception_fp_ieee_invalid_op 0
		.amdhsa_exception_fp_denorm_src 0
		.amdhsa_exception_fp_ieee_div_zero 0
		.amdhsa_exception_fp_ieee_overflow 0
		.amdhsa_exception_fp_ieee_underflow 0
		.amdhsa_exception_fp_ieee_inexact 0
		.amdhsa_exception_int_div_zero 0
	.end_amdhsa_kernel
	.text
.Lfunc_end7:
	.size	BwdAttentionWarp, .Lfunc_end7-BwdAttentionWarp
                                        ; -- End function
	.set BwdAttentionWarp.num_vgpr, 29
	.set BwdAttentionWarp.num_agpr, 0
	.set BwdAttentionWarp.numbered_sgpr, 64
	.set BwdAttentionWarp.num_named_barrier, 0
	.set BwdAttentionWarp.private_seg_size, 0
	.set BwdAttentionWarp.uses_vcc, 1
	.set BwdAttentionWarp.uses_flat_scratch, 0
	.set BwdAttentionWarp.has_dyn_sized_stack, 0
	.set BwdAttentionWarp.has_recursion, 0
	.set BwdAttentionWarp.has_indirect_call, 0
	.section	.AMDGPU.csdata,"",@progbits
; Kernel info:
; codeLenInByte = 2408
; TotalNumSgprs: 66
; NumVgprs: 29
; ScratchSize: 0
; MemoryBound: 0
; FloatMode: 240
; IeeeMode: 1
; LDSByteSize: 3080 bytes/workgroup (compile time only)
; SGPRBlocks: 0
; VGPRBlocks: 1
; NumSGPRsForWavesPerEU: 66
; NumVGPRsForWavesPerEU: 29
; NamedBarCnt: 0
; Occupancy: 16
; WaveLimiterHint : 0
; COMPUTE_PGM_RSRC2:SCRATCH_EN: 0
; COMPUTE_PGM_RSRC2:USER_SGPR: 4
; COMPUTE_PGM_RSRC2:TRAP_HANDLER: 0
; COMPUTE_PGM_RSRC2:TGID_X_EN: 1
; COMPUTE_PGM_RSRC2:TGID_Y_EN: 0
; COMPUTE_PGM_RSRC2:TGID_Z_EN: 0
; COMPUTE_PGM_RSRC2:TIDIG_COMP_CNT: 2
	.text
	.protected	BwdAttentionBlock       ; -- Begin function BwdAttentionBlock
	.globl	BwdAttentionBlock
	.p2align	8
	.type	BwdAttentionBlock,@function
BwdAttentionBlock:                      ; @BwdAttentionBlock
; %bb.0:
	s_clause 0x2
	s_load_b64 s[4:5], s[2:3], 0x78
	s_load_b256 s[20:27], s[2:3], 0x58
	s_load_b256 s[36:43], s[2:3], 0x38
	s_mov_b32 s33, 0
	s_wait_kmcnt 0x0
	s_cmp_eq_u64 s[4:5], 0
	s_cselect_b32 s6, -1, 0
	s_cmp_eq_u64 s[24:25], 0
	s_cselect_b32 s7, -1, 0
	s_delay_alu instid0(SALU_CYCLE_1) | instskip(SKIP_2) | instid1(SALU_CYCLE_1)
	s_or_b32 s6, s7, s6
	s_cmp_eq_u64 s[26:27], 0
	s_cselect_b32 s7, -1, 0
	s_or_b32 s6, s7, s6
	s_delay_alu instid0(SALU_CYCLE_1)
	s_and_b32 vcc_lo, exec_lo, s6
	s_cbranch_vccnz .LBB8_2
; %bb.1:
	s_load_b32 s33, s[4:5], 0x0
.LBB8_2:
	s_load_b64 s[34:35], s[2:3], 0x30
	s_wait_kmcnt 0x0
	s_cmp_gt_f32 s33, 0
	s_getreg_b32 s6, hwreg(HW_REG_IB_STS2, 6, 4)
	v_and_b32_e32 v2, 0x3ff, v0
	s_cselect_b32 s52, -1, 0
	s_bfe_u32 s4, ttmp6, 0x4000c
	s_and_b32 s5, ttmp6, 15
	s_add_co_i32 s4, s4, 1
	s_delay_alu instid0(SALU_CYCLE_1) | instskip(NEXT) | instid1(SALU_CYCLE_1)
	s_mul_i32 s4, ttmp9, s4
	s_add_co_i32 s5, s5, s4
	s_cmp_eq_u32 s6, 0
	s_cselect_b32 s44, ttmp9, s5
	s_cmp_ngt_f32 s33, 0
	s_cbranch_scc1 .LBB8_11
; %bb.3:
	s_load_b32 s6, s[2:3], 0x9c
	s_load_b64 s[4:5], s[24:25], 0x0
	v_mov_b32_e32 v5, 0
	v_bfe_u32 v1, v0, 10, 10
	v_bfe_u32 v0, v0, 20, 10
	s_wait_kmcnt 0x0
	s_and_b32 s6, s6, 0xffff
	s_delay_alu instid0(SALU_CYCLE_1) | instskip(NEXT) | instid1(VALU_DEP_1)
	v_mad_u32 v4, s44, s6, v2
	v_add_nc_u64_e32 v[4:5], s[4:5], v[4:5]
	s_load_b64 s[4:5], s[0:1], 0x4
	s_delay_alu instid0(VALU_DEP_1) | instskip(SKIP_2) | instid1(VALU_DEP_1)
	v_lshrrev_b64 v[6:7], 30, v[4:5]
	s_wait_xcnt 0x0
	s_load_b64 s[0:1], s[26:27], 0x0
	v_xor_b32_e32 v5, v7, v5
	s_delay_alu instid0(VALU_DEP_2) | instskip(NEXT) | instid1(VALU_DEP_1)
	v_xor_b32_e32 v4, v6, v4
	v_mul_u64_e32 v[4:5], 0xbf58476d1ce4e5b9, v[4:5]
	s_wait_kmcnt 0x0
	s_lshr_b32 s4, s4, 16
	v_mul_u32_u24_e32 v1, s5, v1
	s_mul_i32 s4, s4, s5
	s_cmp_eq_u64 s[0:1], 0
	s_delay_alu instid0(VALU_DEP_2) | instskip(NEXT) | instid1(VALU_DEP_1)
	v_lshrrev_b64 v[6:7], 27, v[4:5]
	v_xor_b32_e32 v5, v7, v5
	s_delay_alu instid0(VALU_DEP_2) | instskip(NEXT) | instid1(VALU_DEP_1)
	v_xor_b32_e32 v4, v6, v4
	v_mul_u64_e32 v[4:5], 0x94d049bb133111eb, v[4:5]
	s_delay_alu instid0(VALU_DEP_1) | instskip(NEXT) | instid1(VALU_DEP_1)
	v_lshrrev_b64 v[6:7], 31, v[4:5]
	v_xor_b32_e32 v3, v6, v4
	s_delay_alu instid0(VALU_DEP_2) | instskip(SKIP_1) | instid1(VALU_DEP_3)
	v_xor_b32_e32 v4, v7, v5
	v_mul_u32_u24_e32 v5, s4, v2
	v_xor_b32_e32 v3, 0x2c7f967f, v3
	s_delay_alu instid0(VALU_DEP_3) | instskip(NEXT) | instid1(VALU_DEP_3)
	v_xor_b32_e32 v4, 0xa03697cb, v4
	v_add3_u32 v0, v5, v1, v0
	s_delay_alu instid0(VALU_DEP_3) | instskip(NEXT) | instid1(VALU_DEP_3)
	v_mul_lo_u32 v3, 0x493c4aa1, v3
	v_mul_lo_u32 v6, 0x7b99840d, v4
	s_delay_alu instid0(VALU_DEP_3) | instskip(NEXT) | instid1(VALU_DEP_3)
	v_mul_lo_u32 v7, v0, 48
	v_add_nc_u32_e32 v0, 0x75bcd15, v3
	v_xor_b32_e32 v1, 0x159a55e5, v3
	s_delay_alu instid0(VALU_DEP_4)
	v_add_nc_u32_e32 v4, 0x1f123bb5, v6
	v_xor_b32_e32 v5, 0x5491333, v6
	v_add_nc_u32_e32 v10, 0x583f19, v3
	ds_store_2addr_b64 v7, v[0:1], v[4:5] offset0:4 offset1:5
	ds_store_b32 v7, v10 offset:48
	s_cbranch_scc1 .LBB8_12
; %bb.4:
	v_or_b32_e32 v7, 8, v7
	s_mov_b64 s[48:49], s[0:1]
	s_get_pc_i64 s[46:47]
	s_add_nc_u64 s[46:47], s[46:47], _ZL22d_xorwow_jump_matrices@rel64+4
	s_branch .LBB8_6
.LBB8_5:                                ;   in Loop: Header=BB8_6 Depth=1
	v_cmp_lt_u64_e64 s1, s[48:49], 4
	s_lshr_b64 s[48:49], s[48:49], 2
	s_add_nc_u64 s[46:47], s[46:47], 0xc80
	s_and_b32 vcc_lo, exec_lo, s1
	s_cbranch_vccnz .LBB8_12
.LBB8_6:                                ; =>This Loop Header: Depth=1
                                        ;     Child Loop BB8_8 Depth 2
                                        ;       Child Loop BB8_9 Depth 3
	s_and_b32 s1, s48, 3
	s_delay_alu instid0(SALU_CYCLE_1)
	s_cmp_eq_u32 s1, 0
	s_cbranch_scc1 .LBB8_5
; %bb.7:                                ;   in Loop: Header=BB8_6 Depth=1
	s_mov_b32 s45, 0
.LBB8_8:                                ;   Parent Loop BB8_6 Depth=1
                                        ; =>  This Loop Header: Depth=2
                                        ;       Child Loop BB8_9 Depth 3
	v_dual_mov_b32 v0, 0 :: v_dual_mov_b32 v1, 0
	v_dual_mov_b32 v4, 0 :: v_dual_mov_b32 v5, 0
	v_mov_b32_e32 v10, 0
	s_mov_b32 s53, 4
	s_mov_b64 s[50:51], s[46:47]
.LBB8_9:                                ;   Parent Loop BB8_6 Depth=1
                                        ;     Parent Loop BB8_8 Depth=2
                                        ; =>    This Inner Loop Header: Depth=3
	s_add_co_i32 s54, s53, -4
	s_add_co_i32 s55, s53, -3
	s_add_co_i32 s56, s53, -2
	s_lshr_b32 s59, s53, 3
	s_lshr_b32 s60, s54, 3
	s_add_co_i32 s57, s53, -1
	s_lshr_b32 s61, s55, 3
	s_lshr_b32 s62, s56, 3
	s_and_b32 s59, s59, 0x1ffffffc
	s_and_b32 s60, s60, 0x1ffffffc
	s_lshr_b32 s63, s57, 3
	s_and_b32 s61, s61, 0x1ffffffc
	s_and_b32 s62, s62, 0x1ffffffc
	v_dual_add_nc_u32 v8, s59, v7 :: v_dual_add_nc_u32 v9, s60, v7
	s_and_b32 s63, s63, 0x1ffffffc
	v_dual_add_nc_u32 v11, s61, v7 :: v_dual_add_nc_u32 v12, s62, v7
	v_add_nc_u32_e32 v13, s63, v7
	s_clause 0x2
	s_load_b512 s[4:19], s[50:51], 0x0
	s_load_b32 s58, s[50:51], 0x60
	s_load_b256 s[24:31], s[50:51], 0x40
	ds_load_b32 v9, v9 offset:24
	ds_load_b32 v11, v11 offset:24
	;; [unrolled: 1-line block ×5, first 2 shown]
	s_wait_xcnt 0x0
	s_add_nc_u64 s[50:51], s[50:51], 0x64
	s_wait_dscnt 0x3
	v_dual_lshrrev_b32 v9, s54, v9 :: v_dual_lshrrev_b32 v11, s55, v11
	s_wait_dscnt 0x1
	v_dual_lshrrev_b32 v12, s56, v12 :: v_dual_lshrrev_b32 v13, s57, v13
	s_wait_dscnt 0x0
	v_lshrrev_b32_e32 v8, s53, v8
	v_bfe_i32 v9, v9, 0, 1
	v_bfe_i32 v11, v11, 0, 1
	;; [unrolled: 1-line block ×5, first 2 shown]
	s_wait_kmcnt 0x0
	v_bitop3_b32 v0, v9, v0, s4 bitop3:0x6c
	v_bitop3_b32 v1, v9, v1, s5 bitop3:0x6c
	;; [unrolled: 1-line block ×5, first 2 shown]
	v_and_b32_e32 v10, s9, v11
	v_and_b32_e32 v14, s10, v11
	;; [unrolled: 1-line block ×20, first 2 shown]
	v_xor3_b32 v0, v10, v0, v17
	v_xor3_b32 v1, v14, v1, v18
	;; [unrolled: 1-line block ×10, first 2 shown]
	s_add_co_i32 s53, s53, 5
	s_delay_alu instid0(SALU_CYCLE_1)
	s_cmp_lg_u32 s53, 0xa4
	s_cbranch_scc1 .LBB8_9
; %bb.10:                               ;   in Loop: Header=BB8_8 Depth=2
	s_add_co_i32 s45, s45, 1
	ds_store_2addr_b64 v7, v[0:1], v[4:5] offset0:3 offset1:4
	ds_store_b32 v7, v10 offset:40
	s_cmp_eq_u32 s45, s1
	s_cbranch_scc0 .LBB8_8
	s_branch .LBB8_5
.LBB8_11:
	v_mov_b32_e32 v10, 0x5ada9af8
	v_mov_b32_e32 v5, 0x8f14727c
	;; [unrolled: 1-line block ×6, first 2 shown]
	s_branch .LBB8_13
.LBB8_12:
	s_mul_i32 s0, s0, 0x587c5
	s_delay_alu instid0(SALU_CYCLE_1) | instskip(NEXT) | instid1(SALU_CYCLE_1)
	s_add_co_i32 s0, s0, 0x64f0c9
	v_add3_u32 v11, s0, v3, v6
.LBB8_13:
	s_clause 0x2
	s_load_b64 s[0:1], s[2:3], 0x0
	s_load_b128 s[4:7], s[2:3], 0x18
	s_load_b64 s[16:17], s[2:3], 0x28
	s_load_b32 s19, s[36:37], 0x0
	s_load_b32 s27, s[38:39], 0x0
	;; [unrolled: 1-line block ×6, first 2 shown]
                                        ; kill: killed $sgpr36_sgpr37_sgpr38_sgpr39_sgpr40_sgpr41_sgpr42 killed $sgpr43
                                        ; kill: killed $sgpr20_sgpr21_sgpr22_sgpr23
	s_load_b128 s[8:11], s[2:3], 0x80
	s_mov_b32 s45, 0
	v_mov_b32_e32 v3, 0
	s_wait_kmcnt 0x0
	v_cmp_gt_u64_e64 s12, s[10:11], s[44:45]
	v_cmp_gt_u32_e32 vcc_lo, s9, v2
	s_and_b32 s12, vcc_lo, s12
	s_delay_alu instid0(SALU_CYCLE_1)
	s_and_saveexec_b32 s26, s12
	s_cbranch_execz .LBB8_21
; %bb.14:
	s_sub_f32 s20, 1.0, s33
	s_clause 0x1
	s_load_b32 s18, s[2:3], 0x90
	s_load_b128 s[12:15], s[2:3], 0x8
	s_mul_f32 s21, s28, s29
	v_div_scale_f32 v3, null, s20, s20, 1.0
	v_div_scale_f32 v12, vcc_lo, 1.0, s20, 1.0
	s_mul_f32 s27, s19, s27
	v_rcp_f32_e32 v8, v3
	v_xor_b32_e32 v9, 0x80000000, v3
	s_wait_xcnt 0x0
	s_mov_b32 s2, s9
	s_mov_b32 s3, s45
	s_mov_b32 s19, s45
	s_delay_alu instid0(TRANS32_DEP_1) | instskip(SKIP_2) | instid1(VALU_DEP_1)
	v_fma_f32 v3, v9, v8, 1.0
	s_wait_kmcnt 0x0
	s_mul_u64 s[2:3], s[18:19], s[2:3]
	v_dual_fmac_f32 v8, v3, v8 :: v_dual_mov_b32 v3, 0
	s_lshl_b64 s[2:3], s[2:3], 2
	s_lshl_b64 s[22:23], s[18:19], 2
	s_delay_alu instid0(VALU_DEP_1) | instskip(NEXT) | instid1(VALU_DEP_1)
	v_mul_f32_e32 v13, v12, v8
	v_fma_f32 v6, v9, v13, v12
	s_delay_alu instid0(VALU_DEP_1) | instskip(SKIP_2) | instid1(VALU_DEP_2)
	v_fmac_f32_e32 v13, v6, v8
	v_mad_nc_u64_u32 v[6:7], s44, s9, v[2:3]
	s_mul_f32 s9, s20, s21
	v_fmac_f32_e32 v12, v9, v13
	s_delay_alu instid0(VALU_DEP_1) | instskip(NEXT) | instid1(VALU_DEP_3)
	v_div_fmas_f32 v8, v12, v8, v13
	v_lshlrev_b64_e32 v[6:7], 2, v[6:7]
	s_delay_alu instid0(VALU_DEP_2)
	v_div_fixup_f32 v12, v8, s20, 1.0
	s_lshl_b64 s[20:21], s[44:45], 2
	s_and_not1_b32 vcc_lo, exec_lo, s52
	s_mov_b32 s28, 0
	s_cbranch_vccnz .LBB8_16
.LBB8_15:
	s_wait_xcnt 0x1
	v_lshrrev_b32_e32 v8, 2, v0
	v_add_nc_u32_e32 v11, 0x587c5, v11
	s_delay_alu instid0(VALU_DEP_2) | instskip(NEXT) | instid1(VALU_DEP_1)
	v_dual_lshlrev_b32 v8, 4, v10 :: v_dual_bitop2_b32 v0, v8, v0 bitop3:0x14
	v_lshlrev_b32_e32 v9, 1, v0
	s_delay_alu instid0(VALU_DEP_1) | instskip(NEXT) | instid1(VALU_DEP_1)
	v_xor_b32_e32 v8, v8, v9
	v_xor3_b32 v13, v8, v10, v0
	s_delay_alu instid0(VALU_DEP_1) | instskip(NEXT) | instid1(VALU_DEP_1)
	v_add_nc_u32_e32 v0, v13, v11
	v_cvt_f32_u32_e32 v0, v0
	s_delay_alu instid0(VALU_DEP_1) | instskip(NEXT) | instid1(VALU_DEP_1)
	v_fmaak_f32 v0, 0x2f800000, v0, 0x2f800000
	v_cmp_gt_f32_e32 vcc_lo, s33, v0
	s_and_b32 s28, vcc_lo, exec_lo
	s_branch .LBB8_17
.LBB8_16:
	v_dual_mov_b32 v13, v10 :: v_dual_mov_b32 v10, v5
	v_dual_mov_b32 v5, v4 :: v_dual_mov_b32 v4, v1
	v_mov_b32_e32 v1, v0
.LBB8_17:
	s_wait_xcnt 0x1
	v_add_nc_u64_e32 v[8:9], s[0:1], v[6:7]
	v_mov_b32_e32 v0, 0
	s_xor_b32 s29, s28, -1
	s_wait_xcnt 0x0
	s_and_saveexec_b32 s28, s29
	s_cbranch_execz .LBB8_19
; %bb.18:
	global_load_b32 v0, v[8:9], off
	s_add_nc_u64 s[30:31], s[4:5], s[20:21]
	s_load_b32 s29, s[30:31], 0x0
	s_wait_xcnt 0x0
	s_add_nc_u64 s[30:31], s[6:7], s[20:21]
	s_wait_loadcnt 0x0
	s_wait_kmcnt 0x0
	v_fma_f32 v0, s27, v0, -s29
	s_load_b32 s29, s[30:31], 0x0
	s_delay_alu instid0(VALU_DEP_1) | instskip(SKIP_1) | instid1(VALU_DEP_2)
	v_mul_f32_e32 v14, 0x3fb8aa3b, v0
	v_cmp_ngt_f32_e32 vcc_lo, 0xc2ce8ed0, v0
	v_fma_f32 v15, 0x3fb8aa3b, v0, -v14
	v_rndne_f32_e32 v16, v14
	s_delay_alu instid0(VALU_DEP_2) | instskip(NEXT) | instid1(VALU_DEP_2)
	v_fmac_f32_e32 v15, 0x32a5705f, v0
	v_sub_f32_e32 v14, v14, v16
	s_delay_alu instid0(VALU_DEP_1) | instskip(SKIP_1) | instid1(VALU_DEP_2)
	v_add_f32_e32 v14, v14, v15
	v_cvt_i32_f32_e32 v15, v16
	v_exp_f32_e32 v14, v14
	v_nop
	s_delay_alu instid0(TRANS32_DEP_1) | instskip(NEXT) | instid1(VALU_DEP_1)
	v_ldexp_f32 v14, v14, v15
	v_cndmask_b32_e32 v14, 0, v14, vcc_lo
	v_cmp_nlt_f32_e32 vcc_lo, 0x42b17218, v0
	s_delay_alu instid0(VALU_DEP_2) | instskip(SKIP_1) | instid1(VALU_DEP_1)
	v_cndmask_b32_e32 v0, 0x7f800000, v14, vcc_lo
	s_wait_kmcnt 0x0
	v_mul_f32_e32 v0, s29, v0
	s_delay_alu instid0(VALU_DEP_1)
	v_mul_f32_e32 v0, v12, v0
.LBB8_19:
	s_or_b32 exec_lo, exec_lo, s28
	v_add_nc_u64_e32 v[14:15], s[12:13], v[6:7]
	s_add_nc_u64 s[28:29], s[16:17], s[20:21]
	s_add_nc_u64 s[44:45], s[44:45], s[18:19]
	s_load_b32 s28, s[28:29], 0x0
	s_add_nc_u64 s[20:21], s[20:21], s[22:23]
	v_dual_mul_f32 v16, s24, v0 :: v_dual_max_num_f32 v3, v3, v3
	global_load_b32 v14, v[14:15], off
	global_store_b32 v[8:9], v16, off
	s_wait_loadcnt 0x0
	s_wait_kmcnt 0x0
	s_wait_xcnt 0x1
	v_fma_f32 v14, s9, v14, -s28
	v_cmp_ge_u64_e64 s28, s[44:45], s[10:11]
	s_delay_alu instid0(VALU_DEP_2) | instskip(SKIP_1) | instid1(VALU_DEP_1)
	v_mul_f32_e32 v14, s8, v14
	s_and_b32 vcc_lo, exec_lo, s28
	v_mul_f32_e32 v0, v0, v14
	v_add_nc_u64_e32 v[14:15], s[14:15], v[6:7]
	v_add_nc_u64_e32 v[6:7], s[2:3], v[6:7]
	s_delay_alu instid0(VALU_DEP_3)
	v_mul_f32_e32 v17, s25, v0
	v_max_num_f32_e64 v3, v3, |v0|
	global_store_b32 v[14:15], v17, off
	s_cbranch_vccnz .LBB8_21
; %bb.20:
	v_dual_mov_b32 v0, v1 :: v_dual_mov_b32 v1, v4
	v_dual_mov_b32 v4, v5 :: v_dual_mov_b32 v5, v10
	v_mov_b32_e32 v10, v13
	s_and_not1_b32 vcc_lo, exec_lo, s52
	s_mov_b32 s28, 0
	s_cbranch_vccnz .LBB8_16
	s_branch .LBB8_15
.LBB8_21:
	s_wait_xcnt 0x0
	s_or_b32 exec_lo, exec_lo, s26
	ds_swizzle_b32 v0, v3 offset:swizzle(SWAP,1)
	v_max_num_f32_e32 v1, v3, v3
	s_mov_b32 s0, exec_lo
	s_wait_dscnt 0x0
	v_dual_max_num_f32 v0, v0, v0 :: v_dual_bitop2_b32 v3, 31, v2 bitop3:0x40
	s_delay_alu instid0(VALU_DEP_1) | instskip(SKIP_3) | instid1(VALU_DEP_1)
	v_max_num_f32_e32 v0, v0, v1
	ds_swizzle_b32 v1, v0 offset:swizzle(SWAP,2)
	s_wait_dscnt 0x0
	v_max_num_f32_e32 v1, v1, v1
	v_max_num_f32_e32 v0, v1, v0
	ds_swizzle_b32 v1, v0 offset:swizzle(SWAP,4)
	s_wait_dscnt 0x0
	v_max_num_f32_e32 v1, v1, v1
	s_delay_alu instid0(VALU_DEP_1) | instskip(SKIP_3) | instid1(VALU_DEP_1)
	v_max_num_f32_e32 v0, v1, v0
	ds_swizzle_b32 v1, v0 offset:swizzle(SWAP,8)
	s_wait_dscnt 0x0
	v_max_num_f32_e32 v1, v1, v1
	v_max_num_f32_e32 v0, v1, v0
	ds_swizzle_b32 v1, v0 offset:swizzle(SWAP,16)
	v_cmpx_eq_u32_e32 0, v3
	s_cbranch_execz .LBB8_23
; %bb.22:
	v_dual_max_num_f32 v0, v0, v0 :: v_dual_lshrrev_b32 v3, 3, v2
	s_wait_dscnt 0x0
	v_max_num_f32_e32 v1, v1, v1
	s_delay_alu instid0(VALU_DEP_2) | instskip(NEXT) | instid1(VALU_DEP_2)
	v_and_b32_e32 v3, 0x7c, v3
	v_max_num_f32_e32 v0, v1, v0
	ds_store_b32 v3, v0
.LBB8_23:
	s_or_b32 exec_lo, exec_lo, s0
	s_delay_alu instid0(SALU_CYCLE_1)
	s_mov_b32 s0, exec_lo
	s_wait_storecnt_dscnt 0x0
	s_barrier_signal -1
	s_barrier_wait -1
	v_cmpx_gt_u32_e32 2, v2
	s_cbranch_execz .LBB8_26
; %bb.24:
	v_lshlrev_b32_e32 v0, 2, v2
	v_cmp_eq_u32_e32 vcc_lo, 0, v2
	ds_load_b32 v0, v0
	s_wait_dscnt 0x0
	ds_swizzle_b32 v1, v0 offset:swizzle(BITMASK_PERM,"0000i")
	s_and_b32 exec_lo, exec_lo, vcc_lo
	s_cbranch_execz .LBB8_26
; %bb.25:
	s_wait_dscnt 0x0
	v_dual_max_num_f32 v0, v0, v0 :: v_dual_max_num_f32 v1, v1, v1
	s_delay_alu instid0(VALU_DEP_1)
	v_dual_max_num_f32 v0, v1, v0 :: v_dual_mov_b32 v1, 0
	ds_store_b32 v1, v0
.LBB8_26:
	s_or_b32 exec_lo, exec_lo, s0
	s_wait_dscnt 0x0
	s_barrier_signal -1
	s_barrier_wait -1
	s_mov_b32 s0, exec_lo
	v_cmpx_eq_u32_e32 0, v2
	s_cbranch_execz .LBB8_29
; %bb.27:
	v_mbcnt_lo_u32_b32 v0, exec_lo, 0
	s_delay_alu instid0(VALU_DEP_1)
	v_cmp_eq_u32_e32 vcc_lo, 0, v0
	s_and_b32 exec_lo, exec_lo, vcc_lo
	s_cbranch_execz .LBB8_29
; %bb.28:
	v_mov_b32_e32 v0, 0
	ds_load_b32 v1, v0
	s_wait_dscnt 0x0
	global_atomic_max_i32 v0, v1, s[34:35] scope:SCOPE_DEV
.LBB8_29:
	s_endpgm
	.section	.rodata,"a",@progbits
	.p2align	6, 0x0
	.amdhsa_kernel BwdAttentionBlock
		.amdhsa_group_segment_fixed_size 3080
		.amdhsa_private_segment_fixed_size 0
		.amdhsa_kernarg_size 400
		.amdhsa_user_sgpr_count 4
		.amdhsa_user_sgpr_dispatch_ptr 1
		.amdhsa_user_sgpr_queue_ptr 0
		.amdhsa_user_sgpr_kernarg_segment_ptr 1
		.amdhsa_user_sgpr_dispatch_id 0
		.amdhsa_user_sgpr_kernarg_preload_length 0
		.amdhsa_user_sgpr_kernarg_preload_offset 0
		.amdhsa_user_sgpr_private_segment_size 0
		.amdhsa_wavefront_size32 1
		.amdhsa_uses_dynamic_stack 0
		.amdhsa_enable_private_segment 0
		.amdhsa_system_sgpr_workgroup_id_x 1
		.amdhsa_system_sgpr_workgroup_id_y 0
		.amdhsa_system_sgpr_workgroup_id_z 0
		.amdhsa_system_sgpr_workgroup_info 0
		.amdhsa_system_vgpr_workitem_id 2
		.amdhsa_next_free_vgpr 29
		.amdhsa_next_free_sgpr 64
		.amdhsa_named_barrier_count 0
		.amdhsa_reserve_vcc 1
		.amdhsa_float_round_mode_32 0
		.amdhsa_float_round_mode_16_64 0
		.amdhsa_float_denorm_mode_32 3
		.amdhsa_float_denorm_mode_16_64 3
		.amdhsa_fp16_overflow 0
		.amdhsa_memory_ordered 1
		.amdhsa_forward_progress 1
		.amdhsa_inst_pref_size 19
		.amdhsa_round_robin_scheduling 0
		.amdhsa_exception_fp_ieee_invalid_op 0
		.amdhsa_exception_fp_denorm_src 0
		.amdhsa_exception_fp_ieee_div_zero 0
		.amdhsa_exception_fp_ieee_overflow 0
		.amdhsa_exception_fp_ieee_underflow 0
		.amdhsa_exception_fp_ieee_inexact 0
		.amdhsa_exception_int_div_zero 0
	.end_amdhsa_kernel
	.text
.Lfunc_end8:
	.size	BwdAttentionBlock, .Lfunc_end8-BwdAttentionBlock
                                        ; -- End function
	.set BwdAttentionBlock.num_vgpr, 29
	.set BwdAttentionBlock.num_agpr, 0
	.set BwdAttentionBlock.numbered_sgpr, 64
	.set BwdAttentionBlock.num_named_barrier, 0
	.set BwdAttentionBlock.private_seg_size, 0
	.set BwdAttentionBlock.uses_vcc, 1
	.set BwdAttentionBlock.uses_flat_scratch, 0
	.set BwdAttentionBlock.has_dyn_sized_stack, 0
	.set BwdAttentionBlock.has_recursion, 0
	.set BwdAttentionBlock.has_indirect_call, 0
	.section	.AMDGPU.csdata,"",@progbits
; Kernel info:
; codeLenInByte = 2376
; TotalNumSgprs: 66
; NumVgprs: 29
; ScratchSize: 0
; MemoryBound: 0
; FloatMode: 240
; IeeeMode: 1
; LDSByteSize: 3080 bytes/workgroup (compile time only)
; SGPRBlocks: 0
; VGPRBlocks: 1
; NumSGPRsForWavesPerEU: 66
; NumVGPRsForWavesPerEU: 29
; NamedBarCnt: 0
; Occupancy: 16
; WaveLimiterHint : 0
; COMPUTE_PGM_RSRC2:SCRATCH_EN: 0
; COMPUTE_PGM_RSRC2:USER_SGPR: 4
; COMPUTE_PGM_RSRC2:TRAP_HANDLER: 0
; COMPUTE_PGM_RSRC2:TGID_X_EN: 1
; COMPUTE_PGM_RSRC2:TGID_Y_EN: 0
; COMPUTE_PGM_RSRC2:TGID_Z_EN: 0
; COMPUTE_PGM_RSRC2:TIDIG_COMP_CNT: 2
	.text
	.protected	BwdAttentionCommon      ; -- Begin function BwdAttentionCommon
	.globl	BwdAttentionCommon
	.p2align	8
	.type	BwdAttentionCommon,@function
BwdAttentionCommon:                     ; @BwdAttentionCommon
; %bb.0:
	s_clause 0x2
	s_load_b64 s[4:5], s[2:3], 0x78
	s_load_b256 s[20:27], s[2:3], 0x58
	s_load_b256 s[36:43], s[2:3], 0x38
	s_mov_b32 s33, 0
	s_wait_kmcnt 0x0
	s_cmp_eq_u64 s[4:5], 0
	s_cselect_b32 s6, -1, 0
	s_cmp_eq_u64 s[24:25], 0
	s_cselect_b32 s7, -1, 0
	s_delay_alu instid0(SALU_CYCLE_1) | instskip(SKIP_2) | instid1(SALU_CYCLE_1)
	s_or_b32 s6, s7, s6
	s_cmp_eq_u64 s[26:27], 0
	s_cselect_b32 s7, -1, 0
	s_or_b32 s6, s7, s6
	s_delay_alu instid0(SALU_CYCLE_1)
	s_and_b32 vcc_lo, exec_lo, s6
	s_cbranch_vccnz .LBB9_2
; %bb.1:
	s_load_b32 s33, s[4:5], 0x0
.LBB9_2:
	s_load_b64 s[34:35], s[2:3], 0x30
	s_wait_kmcnt 0x0
	s_cmp_gt_f32 s33, 0
	s_getreg_b32 s6, hwreg(HW_REG_IB_STS2, 6, 4)
	v_and_b32_e32 v6, 0x3ff, v0
	s_cselect_b32 s52, -1, 0
	s_bfe_u32 s4, ttmp6, 0x4000c
	s_and_b32 s5, ttmp6, 15
	s_add_co_i32 s4, s4, 1
	s_delay_alu instid0(SALU_CYCLE_1) | instskip(NEXT) | instid1(SALU_CYCLE_1)
	s_mul_i32 s4, ttmp9, s4
	s_add_co_i32 s5, s5, s4
	s_cmp_eq_u32 s6, 0
	s_cselect_b32 s44, ttmp9, s5
	s_cmp_ngt_f32 s33, 0
	s_cbranch_scc1 .LBB9_11
; %bb.3:
	s_load_b32 s6, s[2:3], 0x9c
	s_load_b64 s[4:5], s[24:25], 0x0
	v_mov_b32_e32 v3, 0
	v_bfe_u32 v1, v0, 10, 10
	v_bfe_u32 v0, v0, 20, 10
	s_wait_kmcnt 0x0
	s_and_b32 s6, s6, 0xffff
	s_delay_alu instid0(SALU_CYCLE_1) | instskip(NEXT) | instid1(VALU_DEP_1)
	v_mad_u32 v2, s44, s6, v6
	v_add_nc_u64_e32 v[2:3], s[4:5], v[2:3]
	s_load_b64 s[4:5], s[0:1], 0x4
	s_delay_alu instid0(VALU_DEP_1) | instskip(SKIP_2) | instid1(VALU_DEP_1)
	v_lshrrev_b64 v[4:5], 30, v[2:3]
	s_wait_xcnt 0x0
	s_load_b64 s[0:1], s[26:27], 0x0
	v_xor_b32_e32 v3, v5, v3
	s_delay_alu instid0(VALU_DEP_2) | instskip(NEXT) | instid1(VALU_DEP_1)
	v_xor_b32_e32 v2, v4, v2
	v_mul_u64_e32 v[2:3], 0xbf58476d1ce4e5b9, v[2:3]
	s_wait_kmcnt 0x0
	s_lshr_b32 s4, s4, 16
	v_mul_u32_u24_e32 v1, s5, v1
	s_mul_i32 s4, s4, s5
	s_delay_alu instid0(SALU_CYCLE_1) | instskip(SKIP_1) | instid1(VALU_DEP_1)
	v_mul_u32_u24_e32 v7, s4, v6
	s_cmp_eq_u64 s[0:1], 0
	v_add3_u32 v0, v7, v1, v0
	s_delay_alu instid0(VALU_DEP_1) | instskip(SKIP_1) | instid1(VALU_DEP_1)
	v_mul_lo_u32 v8, v0, 48
	v_lshrrev_b64 v[4:5], 27, v[2:3]
	v_xor_b32_e32 v3, v5, v3
	s_delay_alu instid0(VALU_DEP_2) | instskip(NEXT) | instid1(VALU_DEP_1)
	v_xor_b32_e32 v2, v4, v2
	v_mul_u64_e32 v[2:3], 0x94d049bb133111eb, v[2:3]
	s_delay_alu instid0(VALU_DEP_1) | instskip(NEXT) | instid1(VALU_DEP_1)
	v_lshrrev_b64 v[4:5], 31, v[2:3]
	v_xor_b32_e32 v2, v4, v2
	s_delay_alu instid0(VALU_DEP_2) | instskip(NEXT) | instid1(VALU_DEP_2)
	v_xor_b32_e32 v3, v5, v3
	v_xor_b32_e32 v2, 0x2c7f967f, v2
	s_delay_alu instid0(VALU_DEP_2) | instskip(NEXT) | instid1(VALU_DEP_2)
	v_xor_b32_e32 v3, 0xa03697cb, v3
	v_mul_lo_u32 v4, 0x493c4aa1, v2
	s_delay_alu instid0(VALU_DEP_2) | instskip(NEXT) | instid1(VALU_DEP_2)
	v_mul_lo_u32 v5, 0x7b99840d, v3
	v_add_nc_u32_e32 v0, 0x75bcd15, v4
	v_xor_b32_e32 v1, 0x159a55e5, v4
	s_delay_alu instid0(VALU_DEP_3)
	v_add_nc_u32_e32 v2, 0x1f123bb5, v5
	v_xor_b32_e32 v3, 0x5491333, v5
	v_add_nc_u32_e32 v7, 0x583f19, v4
	ds_store_2addr_b64 v8, v[0:1], v[2:3] offset0:4 offset1:5
	ds_store_b32 v8, v7 offset:48
	s_cbranch_scc1 .LBB9_12
; %bb.4:
	v_or_b32_e32 v8, 8, v8
	s_mov_b64 s[48:49], s[0:1]
	s_get_pc_i64 s[46:47]
	s_add_nc_u64 s[46:47], s[46:47], _ZL22d_xorwow_jump_matrices@rel64+4
	s_branch .LBB9_6
.LBB9_5:                                ;   in Loop: Header=BB9_6 Depth=1
	v_cmp_lt_u64_e64 s1, s[48:49], 4
	s_lshr_b64 s[48:49], s[48:49], 2
	s_add_nc_u64 s[46:47], s[46:47], 0xc80
	s_and_b32 vcc_lo, exec_lo, s1
	s_cbranch_vccnz .LBB9_12
.LBB9_6:                                ; =>This Loop Header: Depth=1
                                        ;     Child Loop BB9_8 Depth 2
                                        ;       Child Loop BB9_9 Depth 3
	s_and_b32 s1, s48, 3
	s_delay_alu instid0(SALU_CYCLE_1)
	s_cmp_eq_u32 s1, 0
	s_cbranch_scc1 .LBB9_5
; %bb.7:                                ;   in Loop: Header=BB9_6 Depth=1
	s_mov_b32 s45, 0
.LBB9_8:                                ;   Parent Loop BB9_6 Depth=1
                                        ; =>  This Loop Header: Depth=2
                                        ;       Child Loop BB9_9 Depth 3
	v_dual_mov_b32 v0, 0 :: v_dual_mov_b32 v1, 0
	v_dual_mov_b32 v2, 0 :: v_dual_mov_b32 v3, 0
	v_mov_b32_e32 v7, 0
	s_mov_b32 s53, 4
	s_mov_b64 s[50:51], s[46:47]
.LBB9_9:                                ;   Parent Loop BB9_6 Depth=1
                                        ;     Parent Loop BB9_8 Depth=2
                                        ; =>    This Inner Loop Header: Depth=3
	s_add_co_i32 s54, s53, -4
	s_add_co_i32 s55, s53, -3
	;; [unrolled: 1-line block ×3, first 2 shown]
	s_lshr_b32 s59, s53, 3
	s_lshr_b32 s60, s54, 3
	s_add_co_i32 s57, s53, -1
	s_lshr_b32 s61, s55, 3
	s_lshr_b32 s62, s56, 3
	s_and_b32 s59, s59, 0x1ffffffc
	s_and_b32 s60, s60, 0x1ffffffc
	s_lshr_b32 s63, s57, 3
	s_and_b32 s61, s61, 0x1ffffffc
	s_and_b32 s62, s62, 0x1ffffffc
	v_dual_add_nc_u32 v9, s59, v8 :: v_dual_add_nc_u32 v10, s60, v8
	s_and_b32 s63, s63, 0x1ffffffc
	v_dual_add_nc_u32 v11, s61, v8 :: v_dual_add_nc_u32 v12, s62, v8
	v_add_nc_u32_e32 v13, s63, v8
	s_clause 0x2
	s_load_b512 s[4:19], s[50:51], 0x0
	s_load_b32 s58, s[50:51], 0x60
	s_load_b256 s[24:31], s[50:51], 0x40
	ds_load_b32 v10, v10 offset:24
	ds_load_b32 v11, v11 offset:24
	;; [unrolled: 1-line block ×5, first 2 shown]
	s_wait_xcnt 0x0
	s_add_nc_u64 s[50:51], s[50:51], 0x64
	s_wait_dscnt 0x3
	v_dual_lshrrev_b32 v10, s54, v10 :: v_dual_lshrrev_b32 v11, s55, v11
	s_wait_dscnt 0x2
	v_lshrrev_b32_e32 v12, s56, v12
	s_delay_alu instid0(VALU_DEP_2) | instskip(NEXT) | instid1(VALU_DEP_3)
	v_bfe_i32 v10, v10, 0, 1
	v_bfe_i32 v11, v11, 0, 1
	s_wait_dscnt 0x1
	v_lshrrev_b32_e32 v13, s57, v13
	s_wait_dscnt 0x0
	v_lshrrev_b32_e32 v9, s53, v9
	v_bfe_i32 v12, v12, 0, 1
	s_wait_kmcnt 0x0
	v_bitop3_b32 v0, v10, v0, s4 bitop3:0x6c
	v_bitop3_b32 v1, v10, v1, s5 bitop3:0x6c
	;; [unrolled: 1-line block ×5, first 2 shown]
	v_and_b32_e32 v10, s9, v11
	v_bfe_i32 v13, v13, 0, 1
	v_and_b32_e32 v14, s10, v11
	v_bfe_i32 v9, v9, 0, 1
	v_and_b32_e32 v15, s11, v11
	v_and_b32_e32 v16, s12, v11
	;; [unrolled: 1-line block ×18, first 2 shown]
	v_xor3_b32 v0, v10, v0, v17
	v_xor3_b32 v1, v14, v1, v18
	;; [unrolled: 1-line block ×10, first 2 shown]
	s_add_co_i32 s53, s53, 5
	s_delay_alu instid0(SALU_CYCLE_1)
	s_cmp_lg_u32 s53, 0xa4
	s_cbranch_scc1 .LBB9_9
; %bb.10:                               ;   in Loop: Header=BB9_8 Depth=2
	s_add_co_i32 s45, s45, 1
	ds_store_2addr_b64 v8, v[0:1], v[2:3] offset0:3 offset1:4
	ds_store_b32 v8, v7 offset:40
	s_cmp_eq_u32 s45, s1
	s_cbranch_scc0 .LBB9_8
	s_branch .LBB9_5
.LBB9_11:
	v_mov_b32_e32 v7, 0x5ada9af8
	v_mov_b32_e32 v3, 0x8f14727c
	;; [unrolled: 1-line block ×6, first 2 shown]
	s_branch .LBB9_13
.LBB9_12:
	s_mul_i32 s0, s0, 0x587c5
	s_delay_alu instid0(SALU_CYCLE_1) | instskip(NEXT) | instid1(SALU_CYCLE_1)
	s_add_co_i32 s0, s0, 0x64f0c9
	v_add3_u32 v8, s0, v4, v5
.LBB9_13:
	s_clause 0x2
	s_load_b64 s[12:13], s[2:3], 0x0
	s_load_b128 s[4:7], s[2:3], 0x18
	s_load_b64 s[14:15], s[2:3], 0x28
	s_load_b32 s0, s[36:37], 0x0
	s_load_b32 s24, s[38:39], 0x0
	;; [unrolled: 1-line block ×6, first 2 shown]
                                        ; kill: killed $sgpr36_sgpr37_sgpr38_sgpr39_sgpr40_sgpr41_sgpr42 killed $sgpr43
                                        ; kill: killed $sgpr20_sgpr21_sgpr22_sgpr23
	s_load_b64 s[16:17], s[2:3], 0x88
	s_mov_b32 s45, 0
	v_mov_b32_e32 v10, 0
	s_wait_kmcnt 0x0
	v_cmp_le_u64_e64 s8, s[16:17], s[44:45]
	s_and_b32 vcc_lo, exec_lo, s8
	s_cbranch_vccnz .LBB9_24
; %bb.14:
	s_sub_f32 s21, 1.0, s33
	s_clause 0x2
	s_load_b64 s[18:19], s[2:3], 0x80
	s_load_b128 s[8:11], s[2:3], 0x8
	s_load_b32 s20, s[2:3], 0x90
	v_div_scale_f32 v4, null, s21, s21, 1.0
	v_div_scale_f32 v10, vcc_lo, 1.0, s21, 1.0
	s_mul_f32 s31, s0, s24
	v_rcp_f32_e32 v5, v4
	v_nop
	v_xor_b32_e32 v4, 0x80000000, v4
	s_mul_f32 s0, s25, s26
	s_mov_b64 s[22:23], s[44:45]
	s_wait_xcnt 0x0
	s_add_nc_u64 s[2:3], s[2:3], 0x90
	s_mul_f32 s36, s21, s0
	v_fma_f32 v9, v4, v5, 1.0
	s_wait_kmcnt 0x0
	v_cmp_gt_u32_e64 s0, s19, v6
	s_delay_alu instid0(VALU_DEP_2) | instskip(SKIP_1) | instid1(VALU_DEP_1)
	v_fmac_f32_e32 v5, v9, v5
	s_mov_b32 s44, s19
	v_mul_f32_e32 v9, v10, v5
	s_delay_alu instid0(VALU_DEP_1) | instskip(NEXT) | instid1(VALU_DEP_1)
	v_fma_f32 v11, v4, v9, v10
	v_fmac_f32_e32 v9, v11, v5
	s_delay_alu instid0(VALU_DEP_1) | instskip(NEXT) | instid1(VALU_DEP_1)
	v_fmac_f32_e32 v10, v4, v9
	v_div_fmas_f32 v4, v10, v5, v9
	v_dual_mov_b32 v5, 0 :: v_dual_mov_b32 v10, 0
	s_delay_alu instid0(VALU_DEP_2)
	v_div_fixup_f32 v9, v4, s21, 1.0
	s_mov_b32 s21, s45
	s_branch .LBB9_17
.LBB9_15:                               ;   in Loop: Header=BB9_17 Depth=1
	s_or_b32 exec_lo, exec_lo, s41
	v_dual_mov_b32 v1, v14 :: v_dual_mov_b32 v2, v13
	v_dual_mov_b32 v3, v12 :: v_dual_mov_b32 v7, v11
.LBB9_16:                               ;   in Loop: Header=BB9_17 Depth=1
	s_or_b32 exec_lo, exec_lo, s37
	s_add_nc_u64 s[22:23], s[22:23], s[20:21]
	s_delay_alu instid0(SALU_CYCLE_1)
	v_cmp_ge_u64_e64 s24, s[22:23], s[16:17]
	s_and_b32 vcc_lo, exec_lo, s24
	s_cbranch_vccnz .LBB9_24
.LBB9_17:                               ; =>This Loop Header: Depth=1
                                        ;     Child Loop BB9_20 Depth 2
	s_and_saveexec_b32 s37, s0
	s_cbranch_execz .LBB9_16
; %bb.18:                               ;   in Loop: Header=BB9_17 Depth=1
	s_lshl_b64 s[24:25], s[22:23], 2
	s_load_b32 s41, s[2:3], 0xc
	s_add_nc_u64 s[26:27], s[4:5], s[24:25]
	s_add_nc_u64 s[28:29], s[6:7], s[24:25]
	;; [unrolled: 1-line block ×3, first 2 shown]
	s_load_b32 s38, s[26:27], 0x0
	s_load_b32 s39, s[28:29], 0x0
	;; [unrolled: 1-line block ×3, first 2 shown]
	s_wait_xcnt 0x0
	s_mul_u64 s[24:25], s[22:23], s[44:45]
	v_mov_b32_e32 v4, v6
	s_lshl_b64 s[28:29], s[24:25], 2
	s_delay_alu instid0(SALU_CYCLE_1)
	s_add_nc_u64 s[24:25], s[12:13], s[28:29]
	s_add_nc_u64 s[26:27], s[8:9], s[28:29]
	;; [unrolled: 1-line block ×3, first 2 shown]
	s_wait_kmcnt 0x0
	s_and_b32 s42, s41, 0xffff
	s_mov_b32 s41, 0
	s_branch .LBB9_20
.LBB9_19:                               ;   in Loop: Header=BB9_20 Depth=2
	s_or_b32 exec_lo, exec_lo, s43
	v_lshlrev_b64_e32 v[16:17], 2, v[4:5]
	v_dual_max_num_f32 v7, v10, v10 :: v_dual_add_nc_u32 v4, s42, v4
	v_mul_f32_e32 v15, s1, v2
	s_delay_alu instid0(VALU_DEP_2) | instskip(NEXT) | instid1(VALU_DEP_4)
	v_cmp_le_u32_e32 vcc_lo, s19, v4
	v_add_nc_u64_e32 v[18:19], s[26:27], v[16:17]
	s_or_b32 s41, vcc_lo, s41
	global_load_b32 v1, v[18:19], off
	s_wait_xcnt 0x0
	v_add_nc_u64_e32 v[18:19], s[24:25], v[16:17]
	v_add_nc_u64_e32 v[16:17], s[28:29], v[16:17]
	s_wait_loadcnt 0x0
	v_fma_f32 v1, s36, v1, -s40
	s_delay_alu instid0(VALU_DEP_1) | instskip(NEXT) | instid1(VALU_DEP_1)
	v_dual_mul_f32 v3, s18, v1 :: v_dual_mov_b32 v1, v14
	v_dual_mul_f32 v3, v2, v3 :: v_dual_mov_b32 v2, v13
	s_delay_alu instid0(VALU_DEP_1)
	v_max_num_f32_e64 v10, v7, |v3|
	v_dual_mov_b32 v7, v11 :: v_dual_mul_f32 v20, s30, v3
	v_mov_b32_e32 v3, v12
	global_store_b32 v[18:19], v15, off
	global_store_b32 v[16:17], v20, off
	s_wait_xcnt 0x0
	s_and_not1_b32 exec_lo, exec_lo, s41
	s_cbranch_execz .LBB9_15
.LBB9_20:                               ;   Parent Loop BB9_17 Depth=1
                                        ; =>  This Inner Loop Header: Depth=2
	s_and_not1_b32 vcc_lo, exec_lo, s52
	s_cbranch_vccnz .LBB9_22
; %bb.21:                               ;   in Loop: Header=BB9_20 Depth=2
	v_lshrrev_b32_e32 v11, 2, v0
	v_dual_mov_b32 v13, v3 :: v_dual_add_nc_u32 v8, 0x587c5, v8
	s_delay_alu instid0(VALU_DEP_2) | instskip(NEXT) | instid1(VALU_DEP_1)
	v_dual_mov_b32 v14, v2 :: v_dual_bitop2_b32 v0, v11, v0 bitop3:0x14
	v_dual_lshlrev_b32 v11, 4, v7 :: v_dual_lshlrev_b32 v12, 1, v0
	s_delay_alu instid0(VALU_DEP_1) | instskip(SKIP_1) | instid1(VALU_DEP_2)
	v_xor_b32_e32 v11, v11, v12
	v_mov_b32_e32 v12, v7
	v_xor3_b32 v11, v11, v7, v0
	s_delay_alu instid0(VALU_DEP_1) | instskip(NEXT) | instid1(VALU_DEP_1)
	v_add_nc_u32_e32 v0, v11, v8
	v_cvt_f32_u32_e32 v0, v0
	s_delay_alu instid0(VALU_DEP_1) | instskip(NEXT) | instid1(VALU_DEP_1)
	v_fmaak_f32 v0, 0x2f800000, v0, 0x2f800000
	v_cmp_gt_f32_e32 vcc_lo, s33, v0
	v_mov_b32_e32 v0, v1
	s_and_b32 s43, vcc_lo, exec_lo
	v_mov_b32_e32 v2, 0
	s_xor_b32 s46, s43, -1
	s_delay_alu instid0(SALU_CYCLE_1)
	s_and_saveexec_b32 s43, s46
	s_cbranch_execz .LBB9_19
	s_branch .LBB9_23
.LBB9_22:                               ;   in Loop: Header=BB9_20 Depth=2
	v_dual_mov_b32 v11, v7 :: v_dual_mov_b32 v12, v3
	v_dual_mov_b32 v13, v2 :: v_dual_mov_b32 v14, v1
	s_mov_b32 s43, 0
	v_mov_b32_e32 v2, 0
	s_xor_b32 s46, s43, -1
	s_delay_alu instid0(SALU_CYCLE_1)
	s_and_saveexec_b32 s43, s46
	s_cbranch_execz .LBB9_19
.LBB9_23:                               ;   in Loop: Header=BB9_20 Depth=2
	v_lshl_add_u64 v[2:3], v[4:5], 2, s[24:25]
	global_load_b32 v1, v[2:3], off
	s_wait_loadcnt 0x0
	v_fma_f32 v1, s31, v1, -s38
	s_wait_xcnt 0x0
	s_delay_alu instid0(VALU_DEP_1) | instskip(SKIP_1) | instid1(VALU_DEP_2)
	v_mul_f32_e32 v2, 0x3fb8aa3b, v1
	v_cmp_ngt_f32_e32 vcc_lo, 0xc2ce8ed0, v1
	v_fma_f32 v3, 0x3fb8aa3b, v1, -v2
	v_rndne_f32_e32 v7, v2
	s_delay_alu instid0(VALU_DEP_1) | instskip(NEXT) | instid1(VALU_DEP_1)
	v_dual_fmac_f32 v3, 0x32a5705f, v1 :: v_dual_sub_f32 v2, v2, v7
	v_add_f32_e32 v2, v2, v3
	v_cvt_i32_f32_e32 v3, v7
	s_delay_alu instid0(VALU_DEP_2) | instskip(SKIP_1) | instid1(TRANS32_DEP_1)
	v_exp_f32_e32 v2, v2
	v_nop
	v_ldexp_f32 v2, v2, v3
	s_delay_alu instid0(VALU_DEP_1) | instskip(SKIP_1) | instid1(VALU_DEP_2)
	v_cndmask_b32_e32 v2, 0, v2, vcc_lo
	v_cmp_nlt_f32_e32 vcc_lo, 0x42b17218, v1
	v_cndmask_b32_e32 v1, 0x7f800000, v2, vcc_lo
	s_delay_alu instid0(VALU_DEP_1) | instskip(NEXT) | instid1(VALU_DEP_1)
	v_mul_f32_e32 v1, s39, v1
	v_mul_f32_e32 v2, v9, v1
	s_branch .LBB9_19
.LBB9_24:
	ds_swizzle_b32 v0, v10 offset:swizzle(SWAP,1)
	v_max_num_f32_e32 v1, v10, v10
	s_mov_b32 s0, exec_lo
	s_wait_dscnt 0x0
	v_dual_max_num_f32 v0, v0, v0 :: v_dual_bitop2_b32 v2, 31, v6 bitop3:0x40
	s_delay_alu instid0(VALU_DEP_1) | instskip(SKIP_3) | instid1(VALU_DEP_1)
	v_max_num_f32_e32 v0, v0, v1
	ds_swizzle_b32 v1, v0 offset:swizzle(SWAP,2)
	s_wait_dscnt 0x0
	v_max_num_f32_e32 v1, v1, v1
	v_max_num_f32_e32 v0, v1, v0
	ds_swizzle_b32 v1, v0 offset:swizzle(SWAP,4)
	s_wait_dscnt 0x0
	v_max_num_f32_e32 v1, v1, v1
	s_delay_alu instid0(VALU_DEP_1) | instskip(SKIP_3) | instid1(VALU_DEP_1)
	v_max_num_f32_e32 v0, v1, v0
	ds_swizzle_b32 v1, v0 offset:swizzle(SWAP,8)
	s_wait_dscnt 0x0
	v_max_num_f32_e32 v1, v1, v1
	v_max_num_f32_e32 v0, v1, v0
	ds_swizzle_b32 v1, v0 offset:swizzle(SWAP,16)
	v_cmpx_eq_u32_e32 0, v2
	s_cbranch_execz .LBB9_26
; %bb.25:
	v_dual_lshrrev_b32 v2, 3, v6 :: v_dual_max_num_f32 v0, v0, v0
	s_wait_dscnt 0x0
	v_max_num_f32_e32 v1, v1, v1
	s_delay_alu instid0(VALU_DEP_2) | instskip(NEXT) | instid1(VALU_DEP_2)
	v_and_b32_e32 v2, 0x7c, v2
	v_max_num_f32_e32 v0, v1, v0
	ds_store_b32 v2, v0
.LBB9_26:
	s_or_b32 exec_lo, exec_lo, s0
	s_delay_alu instid0(SALU_CYCLE_1)
	s_mov_b32 s0, exec_lo
	s_wait_storecnt_dscnt 0x0
	s_barrier_signal -1
	s_barrier_wait -1
	v_cmpx_gt_u32_e32 2, v6
	s_cbranch_execz .LBB9_29
; %bb.27:
	v_lshlrev_b32_e32 v0, 2, v6
	v_cmp_eq_u32_e32 vcc_lo, 0, v6
	ds_load_b32 v0, v0
	s_wait_dscnt 0x0
	ds_swizzle_b32 v1, v0 offset:swizzle(BITMASK_PERM,"0000i")
	s_and_b32 exec_lo, exec_lo, vcc_lo
	s_cbranch_execz .LBB9_29
; %bb.28:
	s_wait_dscnt 0x0
	v_dual_max_num_f32 v0, v0, v0 :: v_dual_max_num_f32 v1, v1, v1
	s_delay_alu instid0(VALU_DEP_1)
	v_dual_max_num_f32 v0, v1, v0 :: v_dual_mov_b32 v1, 0
	ds_store_b32 v1, v0
.LBB9_29:
	s_or_b32 exec_lo, exec_lo, s0
	s_wait_dscnt 0x0
	s_barrier_signal -1
	s_barrier_wait -1
	s_mov_b32 s0, exec_lo
	v_cmpx_eq_u32_e32 0, v6
	s_cbranch_execz .LBB9_32
; %bb.30:
	v_mbcnt_lo_u32_b32 v0, exec_lo, 0
	s_delay_alu instid0(VALU_DEP_1)
	v_cmp_eq_u32_e32 vcc_lo, 0, v0
	s_and_b32 exec_lo, exec_lo, vcc_lo
	s_cbranch_execz .LBB9_32
; %bb.31:
	v_mov_b32_e32 v0, 0
	ds_load_b32 v1, v0
	s_wait_dscnt 0x0
	global_atomic_max_i32 v0, v1, s[34:35] scope:SCOPE_DEV
.LBB9_32:
	s_endpgm
	.section	.rodata,"a",@progbits
	.p2align	6, 0x0
	.amdhsa_kernel BwdAttentionCommon
		.amdhsa_group_segment_fixed_size 3080
		.amdhsa_private_segment_fixed_size 0
		.amdhsa_kernarg_size 400
		.amdhsa_user_sgpr_count 4
		.amdhsa_user_sgpr_dispatch_ptr 1
		.amdhsa_user_sgpr_queue_ptr 0
		.amdhsa_user_sgpr_kernarg_segment_ptr 1
		.amdhsa_user_sgpr_dispatch_id 0
		.amdhsa_user_sgpr_kernarg_preload_length 0
		.amdhsa_user_sgpr_kernarg_preload_offset 0
		.amdhsa_user_sgpr_private_segment_size 0
		.amdhsa_wavefront_size32 1
		.amdhsa_uses_dynamic_stack 0
		.amdhsa_enable_private_segment 0
		.amdhsa_system_sgpr_workgroup_id_x 1
		.amdhsa_system_sgpr_workgroup_id_y 0
		.amdhsa_system_sgpr_workgroup_id_z 0
		.amdhsa_system_sgpr_workgroup_info 0
		.amdhsa_system_vgpr_workitem_id 2
		.amdhsa_next_free_vgpr 29
		.amdhsa_next_free_sgpr 64
		.amdhsa_named_barrier_count 0
		.amdhsa_reserve_vcc 1
		.amdhsa_float_round_mode_32 0
		.amdhsa_float_round_mode_16_64 0
		.amdhsa_float_denorm_mode_32 3
		.amdhsa_float_denorm_mode_16_64 3
		.amdhsa_fp16_overflow 0
		.amdhsa_memory_ordered 1
		.amdhsa_forward_progress 1
		.amdhsa_inst_pref_size 20
		.amdhsa_round_robin_scheduling 0
		.amdhsa_exception_fp_ieee_invalid_op 0
		.amdhsa_exception_fp_denorm_src 0
		.amdhsa_exception_fp_ieee_div_zero 0
		.amdhsa_exception_fp_ieee_overflow 0
		.amdhsa_exception_fp_ieee_underflow 0
		.amdhsa_exception_fp_ieee_inexact 0
		.amdhsa_exception_int_div_zero 0
	.end_amdhsa_kernel
	.text
.Lfunc_end9:
	.size	BwdAttentionCommon, .Lfunc_end9-BwdAttentionCommon
                                        ; -- End function
	.set BwdAttentionCommon.num_vgpr, 29
	.set BwdAttentionCommon.num_agpr, 0
	.set BwdAttentionCommon.numbered_sgpr, 64
	.set BwdAttentionCommon.num_named_barrier, 0
	.set BwdAttentionCommon.private_seg_size, 0
	.set BwdAttentionCommon.uses_vcc, 1
	.set BwdAttentionCommon.uses_flat_scratch, 0
	.set BwdAttentionCommon.has_dyn_sized_stack, 0
	.set BwdAttentionCommon.has_recursion, 0
	.set BwdAttentionCommon.has_indirect_call, 0
	.section	.AMDGPU.csdata,"",@progbits
; Kernel info:
; codeLenInByte = 2504
; TotalNumSgprs: 66
; NumVgprs: 29
; ScratchSize: 0
; MemoryBound: 0
; FloatMode: 240
; IeeeMode: 1
; LDSByteSize: 3080 bytes/workgroup (compile time only)
; SGPRBlocks: 0
; VGPRBlocks: 1
; NumSGPRsForWavesPerEU: 66
; NumVGPRsForWavesPerEU: 29
; NamedBarCnt: 0
; Occupancy: 16
; WaveLimiterHint : 1
; COMPUTE_PGM_RSRC2:SCRATCH_EN: 0
; COMPUTE_PGM_RSRC2:USER_SGPR: 4
; COMPUTE_PGM_RSRC2:TRAP_HANDLER: 0
; COMPUTE_PGM_RSRC2:TGID_X_EN: 1
; COMPUTE_PGM_RSRC2:TGID_Y_EN: 0
; COMPUTE_PGM_RSRC2:TGID_Z_EN: 0
; COMPUTE_PGM_RSRC2:TIDIG_COMP_CNT: 2
	.text
	.p2alignl 7, 3214868480
	.fill 96, 4, 3214868480
	.section	.AMDGPU.gpr_maximums,"",@progbits
	.set amdgpu.max_num_vgpr, 0
	.set amdgpu.max_num_agpr, 0
	.set amdgpu.max_num_sgpr, 0
	.text
	.type	_ZL22d_xorwow_jump_matrices,@object ; @_ZL22d_xorwow_jump_matrices
	.section	.rodata,"a",@progbits
	.p2align	4, 0x0
_ZL22d_xorwow_jump_matrices:
	.long	0                               ; 0x0
	.long	0                               ; 0x0
	;; [unrolled: 1-line block ×14, first 2 shown]
	.long	15                              ; 0xf
	.long	0                               ; 0x0
	.long	0                               ; 0x0
	.long	0                               ; 0x0
	.long	0                               ; 0x0
	.long	30                              ; 0x1e
	.long	0                               ; 0x0
	.long	0                               ; 0x0
	.long	0                               ; 0x0
	.long	0                               ; 0x0
	;; [unrolled: 5-line block ×3, first 2 shown]
	.long	120                             ; 0x78
	.long	0                               ; 0x0
	.long	0                               ; 0x0
	.long	0                               ; 0x0
	.long	0                               ; 0x0
	.long	240                             ; 0xf0
	.long	0                               ; 0x0
	.long	0                               ; 0x0
	.long	0                               ; 0x0
	.long	0                               ; 0x0
	;; [unrolled: 5-line block ×4, first 2 shown]
	.long	1920                            ; 0x780
	.long	0                               ; 0x0
	.long	0                               ; 0x0
	.long	0                               ; 0x0
	.long	0                               ; 0x0
	.long	3840                            ; 0xf00
	.long	0                               ; 0x0
	.long	0                               ; 0x0
	.long	0                               ; 0x0
	.long	0                               ; 0x0
	;; [unrolled: 5-line block ×3, first 2 shown]
	.long	15360                           ; 0x3c00
	.long	0                               ; 0x0
	.long	0                               ; 0x0
	.long	0                               ; 0x0
	.long	0                               ; 0x0
	.long	30720                           ; 0x7800
	.long	0                               ; 0x0
	.long	0                               ; 0x0
	.long	0                               ; 0x0
	.long	0                               ; 0x0
	;; [unrolled: 5-line block ×3, first 2 shown]
	.long	122880                          ; 0x1e000
	.long	0                               ; 0x0
	.long	0                               ; 0x0
	.long	0                               ; 0x0
	.long	0                               ; 0x0
	.long	245760                          ; 0x3c000
	.long	0                               ; 0x0
	.long	0                               ; 0x0
	.long	0                               ; 0x0
	.long	0                               ; 0x0
	;; [unrolled: 5-line block ×4, first 2 shown]
	.long	1966080                         ; 0x1e0000
	.long	0                               ; 0x0
	.long	0                               ; 0x0
	.long	0                               ; 0x0
	.long	0                               ; 0x0
	.long	3932160                         ; 0x3c0000
	.long	0                               ; 0x0
	.long	0                               ; 0x0
	.long	0                               ; 0x0
	.long	0                               ; 0x0
	;; [unrolled: 5-line block ×3, first 2 shown]
	.long	15728640                        ; 0xf00000
	.long	0                               ; 0x0
	.long	0                               ; 0x0
	.long	0                               ; 0x0
	.long	0                               ; 0x0
	.long	31457280                        ; 0x1e00000
	.long	0                               ; 0x0
	.long	0                               ; 0x0
	.long	0                               ; 0x0
	.long	0                               ; 0x0
	;; [unrolled: 5-line block ×3, first 2 shown]
	.long	125829120                       ; 0x7800000
	.long	0                               ; 0x0
	.long	0                               ; 0x0
	.long	0                               ; 0x0
	.long	0                               ; 0x0
	.long	251658240                       ; 0xf000000
	.long	0                               ; 0x0
	.long	0                               ; 0x0
	.long	0                               ; 0x0
	.long	0                               ; 0x0
	.long	503316480                       ; 0x1e000000
	.long	0                               ; 0x0
	.long	0                               ; 0x0
	.long	0                               ; 0x0
	.long	0                               ; 0x0
	.long	1006632960                      ; 0x3c000000
	.long	0                               ; 0x0
	.long	0                               ; 0x0
	.long	0                               ; 0x0
	.long	0                               ; 0x0
	.long	2013265920                      ; 0x78000000
	.long	0                               ; 0x0
	.long	0                               ; 0x0
	.long	0                               ; 0x0
	.long	0                               ; 0x0
	;; [unrolled: 5-line block ×4, first 2 shown]
	.long	0                               ; 0x0
	.long	2                               ; 0x2
	;; [unrolled: 1-line block ×16, first 2 shown]
	.long	16                              ; 0x10
	.long	0                               ; 0x0
	.long	0                               ; 0x0
	.long	0                               ; 0x0
	.long	0                               ; 0x0
	.long	32                              ; 0x20
	.long	0                               ; 0x0
	.long	0                               ; 0x0
	.long	0                               ; 0x0
	.long	0                               ; 0x0
	;; [unrolled: 5-line block ×3, first 2 shown]
	.long	128                             ; 0x80
	.long	0                               ; 0x0
	.long	0                               ; 0x0
	.long	0                               ; 0x0
	.long	0                               ; 0x0
	.long	256                             ; 0x100
	.long	0                               ; 0x0
	.long	0                               ; 0x0
	.long	0                               ; 0x0
	.long	0                               ; 0x0
	.long	512                             ; 0x200
	.long	0                               ; 0x0
	.long	0                               ; 0x0
	.long	0                               ; 0x0
	.long	0                               ; 0x0
	.long	1024                            ; 0x400
	.long	0                               ; 0x0
	.long	0                               ; 0x0
	.long	0                               ; 0x0
	.long	0                               ; 0x0
	.long	2048                            ; 0x800
	.long	0                               ; 0x0
	.long	0                               ; 0x0
	.long	0                               ; 0x0
	.long	0                               ; 0x0
	.long	4096                            ; 0x1000
	.long	0                               ; 0x0
	.long	0                               ; 0x0
	.long	0                               ; 0x0
	.long	0                               ; 0x0
	.long	8192                            ; 0x2000
	.long	0                               ; 0x0
	.long	0                               ; 0x0
	.long	0                               ; 0x0
	.long	0                               ; 0x0
	.long	16384                           ; 0x4000
	.long	0                               ; 0x0
	.long	0                               ; 0x0
	.long	0                               ; 0x0
	.long	0                               ; 0x0
	.long	32768                           ; 0x8000
	.long	0                               ; 0x0
	.long	0                               ; 0x0
	.long	0                               ; 0x0
	.long	0                               ; 0x0
	;; [unrolled: 5-line block ×3, first 2 shown]
	.long	131072                          ; 0x20000
	.long	0                               ; 0x0
	.long	0                               ; 0x0
	.long	0                               ; 0x0
	.long	0                               ; 0x0
	.long	262144                          ; 0x40000
	.long	0                               ; 0x0
	.long	0                               ; 0x0
	.long	0                               ; 0x0
	.long	0                               ; 0x0
	;; [unrolled: 5-line block ×3, first 2 shown]
	.long	1048576                         ; 0x100000
	.long	0                               ; 0x0
	.long	0                               ; 0x0
	.long	0                               ; 0x0
	.long	0                               ; 0x0
	.long	2097152                         ; 0x200000
	.long	0                               ; 0x0
	.long	0                               ; 0x0
	.long	0                               ; 0x0
	.long	0                               ; 0x0
	;; [unrolled: 5-line block ×4, first 2 shown]
	.long	16777216                        ; 0x1000000
	.long	0                               ; 0x0
	.long	0                               ; 0x0
	.long	0                               ; 0x0
	.long	0                               ; 0x0
	.long	33554432                        ; 0x2000000
	.long	0                               ; 0x0
	.long	0                               ; 0x0
	.long	0                               ; 0x0
	.long	0                               ; 0x0
	;; [unrolled: 5-line block ×3, first 2 shown]
	.long	134217728                       ; 0x8000000
	.long	0                               ; 0x0
	.long	0                               ; 0x0
	.long	0                               ; 0x0
	.long	0                               ; 0x0
	.long	268435456                       ; 0x10000000
	.long	0                               ; 0x0
	.long	0                               ; 0x0
	.long	0                               ; 0x0
	.long	0                               ; 0x0
	;; [unrolled: 5-line block ×3, first 2 shown]
	.long	1073741824                      ; 0x40000000
	.long	0                               ; 0x0
	.long	0                               ; 0x0
	.long	0                               ; 0x0
	.long	0                               ; 0x0
	.long	2147483648                      ; 0x80000000
	.long	0                               ; 0x0
	.long	0                               ; 0x0
	;; [unrolled: 1-line block ×25, first 2 shown]
	.long	16                              ; 0x10
	.long	0                               ; 0x0
	.long	0                               ; 0x0
	.long	0                               ; 0x0
	.long	0                               ; 0x0
	.long	32                              ; 0x20
	.long	0                               ; 0x0
	.long	0                               ; 0x0
	.long	0                               ; 0x0
	.long	0                               ; 0x0
	;; [unrolled: 5-line block ×3, first 2 shown]
	.long	128                             ; 0x80
	.long	0                               ; 0x0
	.long	0                               ; 0x0
	.long	0                               ; 0x0
	.long	0                               ; 0x0
	.long	256                             ; 0x100
	.long	0                               ; 0x0
	.long	0                               ; 0x0
	.long	0                               ; 0x0
	.long	0                               ; 0x0
	;; [unrolled: 5-line block ×3, first 2 shown]
	.long	1024                            ; 0x400
	.long	0                               ; 0x0
	.long	0                               ; 0x0
	.long	0                               ; 0x0
	.long	0                               ; 0x0
	.long	2048                            ; 0x800
	.long	0                               ; 0x0
	.long	0                               ; 0x0
	.long	0                               ; 0x0
	.long	0                               ; 0x0
	;; [unrolled: 5-line block ×4, first 2 shown]
	.long	16384                           ; 0x4000
	.long	0                               ; 0x0
	.long	0                               ; 0x0
	.long	0                               ; 0x0
	.long	0                               ; 0x0
	.long	32768                           ; 0x8000
	.long	0                               ; 0x0
	.long	0                               ; 0x0
	.long	0                               ; 0x0
	.long	0                               ; 0x0
	;; [unrolled: 5-line block ×3, first 2 shown]
	.long	131072                          ; 0x20000
	.long	0                               ; 0x0
	.long	0                               ; 0x0
	.long	0                               ; 0x0
	.long	0                               ; 0x0
	.long	262144                          ; 0x40000
	.long	0                               ; 0x0
	.long	0                               ; 0x0
	.long	0                               ; 0x0
	.long	0                               ; 0x0
	;; [unrolled: 5-line block ×3, first 2 shown]
	.long	1048576                         ; 0x100000
	.long	0                               ; 0x0
	.long	0                               ; 0x0
	.long	0                               ; 0x0
	.long	0                               ; 0x0
	.long	2097152                         ; 0x200000
	.long	0                               ; 0x0
	.long	0                               ; 0x0
	.long	0                               ; 0x0
	.long	0                               ; 0x0
	;; [unrolled: 5-line block ×4, first 2 shown]
	.long	16777216                        ; 0x1000000
	.long	0                               ; 0x0
	.long	0                               ; 0x0
	.long	0                               ; 0x0
	.long	0                               ; 0x0
	.long	33554432                        ; 0x2000000
	.long	0                               ; 0x0
	.long	0                               ; 0x0
	.long	0                               ; 0x0
	.long	0                               ; 0x0
	;; [unrolled: 5-line block ×3, first 2 shown]
	.long	134217728                       ; 0x8000000
	.long	0                               ; 0x0
	.long	0                               ; 0x0
	.long	0                               ; 0x0
	.long	0                               ; 0x0
	.long	268435456                       ; 0x10000000
	.long	0                               ; 0x0
	.long	0                               ; 0x0
	.long	0                               ; 0x0
	.long	0                               ; 0x0
	;; [unrolled: 5-line block ×3, first 2 shown]
	.long	1073741824                      ; 0x40000000
	.long	0                               ; 0x0
	.long	0                               ; 0x0
	.long	0                               ; 0x0
	.long	0                               ; 0x0
	.long	2147483648                      ; 0x80000000
	.long	0                               ; 0x0
	.long	0                               ; 0x0
	;; [unrolled: 1-line block ×25, first 2 shown]
	.long	16                              ; 0x10
	.long	0                               ; 0x0
	.long	0                               ; 0x0
	.long	0                               ; 0x0
	.long	0                               ; 0x0
	.long	32                              ; 0x20
	.long	0                               ; 0x0
	.long	0                               ; 0x0
	.long	0                               ; 0x0
	.long	0                               ; 0x0
	;; [unrolled: 5-line block ×3, first 2 shown]
	.long	128                             ; 0x80
	.long	0                               ; 0x0
	.long	0                               ; 0x0
	.long	0                               ; 0x0
	.long	0                               ; 0x0
	.long	256                             ; 0x100
	.long	0                               ; 0x0
	.long	0                               ; 0x0
	.long	0                               ; 0x0
	.long	0                               ; 0x0
	;; [unrolled: 5-line block ×3, first 2 shown]
	.long	1024                            ; 0x400
	.long	0                               ; 0x0
	.long	0                               ; 0x0
	.long	0                               ; 0x0
	.long	0                               ; 0x0
	.long	2048                            ; 0x800
	.long	0                               ; 0x0
	.long	0                               ; 0x0
	.long	0                               ; 0x0
	.long	0                               ; 0x0
	;; [unrolled: 5-line block ×4, first 2 shown]
	.long	16384                           ; 0x4000
	.long	0                               ; 0x0
	.long	0                               ; 0x0
	.long	0                               ; 0x0
	.long	0                               ; 0x0
	.long	32768                           ; 0x8000
	.long	0                               ; 0x0
	.long	0                               ; 0x0
	.long	0                               ; 0x0
	.long	0                               ; 0x0
	;; [unrolled: 5-line block ×3, first 2 shown]
	.long	131072                          ; 0x20000
	.long	0                               ; 0x0
	.long	0                               ; 0x0
	.long	0                               ; 0x0
	.long	0                               ; 0x0
	.long	262144                          ; 0x40000
	.long	0                               ; 0x0
	.long	0                               ; 0x0
	.long	0                               ; 0x0
	.long	0                               ; 0x0
	;; [unrolled: 5-line block ×3, first 2 shown]
	.long	1048576                         ; 0x100000
	.long	0                               ; 0x0
	.long	0                               ; 0x0
	.long	0                               ; 0x0
	.long	0                               ; 0x0
	.long	2097152                         ; 0x200000
	.long	0                               ; 0x0
	.long	0                               ; 0x0
	.long	0                               ; 0x0
	.long	0                               ; 0x0
	;; [unrolled: 5-line block ×4, first 2 shown]
	.long	16777216                        ; 0x1000000
	.long	0                               ; 0x0
	.long	0                               ; 0x0
	.long	0                               ; 0x0
	.long	0                               ; 0x0
	.long	33554432                        ; 0x2000000
	.long	0                               ; 0x0
	.long	0                               ; 0x0
	.long	0                               ; 0x0
	.long	0                               ; 0x0
	;; [unrolled: 5-line block ×3, first 2 shown]
	.long	134217728                       ; 0x8000000
	.long	0                               ; 0x0
	.long	0                               ; 0x0
	.long	0                               ; 0x0
	.long	0                               ; 0x0
	.long	268435456                       ; 0x10000000
	.long	0                               ; 0x0
	.long	0                               ; 0x0
	.long	0                               ; 0x0
	.long	0                               ; 0x0
	.long	536870912                       ; 0x20000000
	.long	0                               ; 0x0
	.long	0                               ; 0x0
	.long	0                               ; 0x0
	.long	0                               ; 0x0
	.long	1073741824                      ; 0x40000000
	.long	0                               ; 0x0
	.long	0                               ; 0x0
	;; [unrolled: 1-line block ×4, first 2 shown]
	.long	2147483648                      ; 0x80000000
	.long	0                               ; 0x0
	.long	0                               ; 0x0
	.long	0                               ; 0x0
	.long	0                               ; 0x0
	.long	0                               ; 0x0
	.long	1                               ; 0x1
	.long	17                              ; 0x11
	.long	0                               ; 0x0
	.long	0                               ; 0x0
	.long	0                               ; 0x0
	.long	2                               ; 0x2
	.long	34                              ; 0x22
	.long	0                               ; 0x0
	.long	0                               ; 0x0
	.long	0                               ; 0x0
	.long	4                               ; 0x4
	;; [unrolled: 5-line block ×3, first 2 shown]
	.long	136                             ; 0x88
	.long	0                               ; 0x0
	.long	0                               ; 0x0
	.long	0                               ; 0x0
	.long	16                              ; 0x10
	.long	272                             ; 0x110
	.long	0                               ; 0x0
	.long	0                               ; 0x0
	.long	0                               ; 0x0
	.long	32                              ; 0x20
	;; [unrolled: 5-line block ×3, first 2 shown]
	.long	1088                            ; 0x440
	.long	0                               ; 0x0
	.long	0                               ; 0x0
	.long	0                               ; 0x0
	.long	128                             ; 0x80
	.long	2176                            ; 0x880
	.long	0                               ; 0x0
	.long	0                               ; 0x0
	.long	0                               ; 0x0
	.long	256                             ; 0x100
	;; [unrolled: 5-line block ×3, first 2 shown]
	.long	8704                            ; 0x2200
	.long	0                               ; 0x0
	.long	0                               ; 0x0
	.long	0                               ; 0x0
	.long	1024                            ; 0x400
	.long	17408                           ; 0x4400
	.long	0                               ; 0x0
	.long	0                               ; 0x0
	.long	0                               ; 0x0
	.long	2048                            ; 0x800
	.long	34816                           ; 0x8800
	;; [unrolled: 5-line block ×3, first 2 shown]
	.long	0                               ; 0x0
	.long	0                               ; 0x0
	;; [unrolled: 1-line block ×3, first 2 shown]
	.long	8192                            ; 0x2000
	.long	139264                          ; 0x22000
	.long	0                               ; 0x0
	.long	0                               ; 0x0
	.long	0                               ; 0x0
	.long	16384                           ; 0x4000
	.long	278528                          ; 0x44000
	.long	0                               ; 0x0
	.long	0                               ; 0x0
	.long	0                               ; 0x0
	.long	32768                           ; 0x8000
	;; [unrolled: 5-line block ×3, first 2 shown]
	.long	1114112                         ; 0x110000
	.long	0                               ; 0x0
	.long	0                               ; 0x0
	.long	0                               ; 0x0
	.long	131072                          ; 0x20000
	.long	2228224                         ; 0x220000
	.long	0                               ; 0x0
	.long	0                               ; 0x0
	.long	0                               ; 0x0
	.long	262144                          ; 0x40000
	;; [unrolled: 5-line block ×3, first 2 shown]
	.long	8912896                         ; 0x880000
	.long	0                               ; 0x0
	.long	0                               ; 0x0
	.long	0                               ; 0x0
	.long	1048576                         ; 0x100000
	.long	17825792                        ; 0x1100000
	.long	0                               ; 0x0
	.long	0                               ; 0x0
	.long	0                               ; 0x0
	.long	2097152                         ; 0x200000
	.long	35651584                        ; 0x2200000
	;; [unrolled: 5-line block ×3, first 2 shown]
	.long	0                               ; 0x0
	.long	0                               ; 0x0
	;; [unrolled: 1-line block ×3, first 2 shown]
	.long	8388608                         ; 0x800000
	.long	142606336                       ; 0x8800000
	.long	0                               ; 0x0
	.long	0                               ; 0x0
	.long	0                               ; 0x0
	.long	16777216                        ; 0x1000000
	.long	285212672                       ; 0x11000000
	.long	0                               ; 0x0
	.long	0                               ; 0x0
	.long	0                               ; 0x0
	.long	33554432                        ; 0x2000000
	;; [unrolled: 5-line block ×3, first 2 shown]
	.long	1140850688                      ; 0x44000000
	.long	0                               ; 0x0
	.long	0                               ; 0x0
	;; [unrolled: 1-line block ×3, first 2 shown]
	.long	134217728                       ; 0x8000000
	.long	2281701376                      ; 0x88000000
	.long	0                               ; 0x0
	.long	0                               ; 0x0
	;; [unrolled: 1-line block ×3, first 2 shown]
	.long	268435456                       ; 0x10000000
	.long	268435456                       ; 0x10000000
	.long	0                               ; 0x0
	.long	0                               ; 0x0
	;; [unrolled: 1-line block ×3, first 2 shown]
	.long	536870912                       ; 0x20000000
	.long	536870912                       ; 0x20000000
	.long	0                               ; 0x0
	.long	0                               ; 0x0
	;; [unrolled: 1-line block ×3, first 2 shown]
	.long	1073741824                      ; 0x40000000
	.long	1073741824                      ; 0x40000000
	.long	0                               ; 0x0
	.long	0                               ; 0x0
	;; [unrolled: 1-line block ×3, first 2 shown]
	.long	2147483648                      ; 0x80000000
	.long	2147483648                      ; 0x80000000
	.long	0                               ; 0x0
	.long	3                               ; 0x3
	.long	51                              ; 0x33
	.long	771                             ; 0x303
	.long	13107                           ; 0x3333
	.long	0                               ; 0x0
	.long	6                               ; 0x6
	.long	102                             ; 0x66
	.long	1542                            ; 0x606
	.long	26214                           ; 0x6666
	.long	0                               ; 0x0
	.long	15                              ; 0xf
	.long	255                             ; 0xff
	.long	3855                            ; 0xf0f
	.long	65535                           ; 0xffff
	.long	0                               ; 0x0
	.long	30                              ; 0x1e
	.long	510                             ; 0x1fe
	.long	7710                            ; 0x1e1e
	.long	131070                          ; 0x1fffe
	.long	0                               ; 0x0
	.long	60                              ; 0x3c
	.long	1020                            ; 0x3fc
	.long	15420                           ; 0x3c3c
	.long	262140                          ; 0x3fffc
	.long	0                               ; 0x0
	.long	120                             ; 0x78
	.long	2040                            ; 0x7f8
	.long	30840                           ; 0x7878
	.long	524280                          ; 0x7fff8
	.long	0                               ; 0x0
	.long	240                             ; 0xf0
	.long	4080                            ; 0xff0
	.long	61680                           ; 0xf0f0
	.long	1048560                         ; 0xffff0
	.long	0                               ; 0x0
	.long	480                             ; 0x1e0
	.long	8160                            ; 0x1fe0
	.long	123360                          ; 0x1e1e0
	.long	2097120                         ; 0x1fffe0
	.long	0                               ; 0x0
	.long	960                             ; 0x3c0
	.long	16320                           ; 0x3fc0
	.long	246720                          ; 0x3c3c0
	.long	4194240                         ; 0x3fffc0
	.long	0                               ; 0x0
	.long	1920                            ; 0x780
	.long	32640                           ; 0x7f80
	.long	493440                          ; 0x78780
	.long	8388480                         ; 0x7fff80
	.long	0                               ; 0x0
	.long	3840                            ; 0xf00
	.long	65280                           ; 0xff00
	.long	986880                          ; 0xf0f00
	.long	16776960                        ; 0xffff00
	.long	0                               ; 0x0
	.long	7680                            ; 0x1e00
	.long	130560                          ; 0x1fe00
	.long	1973760                         ; 0x1e1e00
	.long	33553920                        ; 0x1fffe00
	.long	0                               ; 0x0
	.long	15360                           ; 0x3c00
	.long	261120                          ; 0x3fc00
	.long	3947520                         ; 0x3c3c00
	.long	67107840                        ; 0x3fffc00
	.long	0                               ; 0x0
	.long	30720                           ; 0x7800
	.long	522240                          ; 0x7f800
	.long	7895040                         ; 0x787800
	.long	134215680                       ; 0x7fff800
	.long	0                               ; 0x0
	.long	61440                           ; 0xf000
	.long	1044480                         ; 0xff000
	.long	15790080                        ; 0xf0f000
	.long	268431360                       ; 0xffff000
	.long	0                               ; 0x0
	.long	122880                          ; 0x1e000
	.long	2088960                         ; 0x1fe000
	.long	31580160                        ; 0x1e1e000
	.long	536862720                       ; 0x1fffe000
	.long	0                               ; 0x0
	.long	245760                          ; 0x3c000
	.long	4177920                         ; 0x3fc000
	.long	63160320                        ; 0x3c3c000
	.long	1073725440                      ; 0x3fffc000
	.long	0                               ; 0x0
	.long	491520                          ; 0x78000
	.long	8355840                         ; 0x7f8000
	.long	126320640                       ; 0x7878000
	.long	2147450880                      ; 0x7fff8000
	.long	0                               ; 0x0
	.long	983040                          ; 0xf0000
	.long	16711680                        ; 0xff0000
	.long	252641280                       ; 0xf0f0000
	.long	4294901760                      ; 0xffff0000
	.long	0                               ; 0x0
	.long	1966080                         ; 0x1e0000
	.long	33423360                        ; 0x1fe0000
	.long	505282560                       ; 0x1e1e0000
	.long	4294836224                      ; 0xfffe0000
	.long	0                               ; 0x0
	.long	3932160                         ; 0x3c0000
	.long	66846720                        ; 0x3fc0000
	.long	1010565120                      ; 0x3c3c0000
	.long	4294705152                      ; 0xfffc0000
	.long	0                               ; 0x0
	.long	7864320                         ; 0x780000
	.long	133693440                       ; 0x7f80000
	.long	2021130240                      ; 0x78780000
	.long	4294443008                      ; 0xfff80000
	.long	0                               ; 0x0
	.long	15728640                        ; 0xf00000
	.long	267386880                       ; 0xff00000
	.long	4042260480                      ; 0xf0f00000
	.long	4293918720                      ; 0xfff00000
	.long	0                               ; 0x0
	.long	31457280                        ; 0x1e00000
	.long	534773760                       ; 0x1fe00000
	.long	3789553664                      ; 0xe1e00000
	.long	4292870144                      ; 0xffe00000
	.long	0                               ; 0x0
	.long	62914560                        ; 0x3c00000
	.long	1069547520                      ; 0x3fc00000
	.long	3284140032                      ; 0xc3c00000
	;; [unrolled: 1-line block ×3, first 2 shown]
	.long	0                               ; 0x0
	.long	125829120                       ; 0x7800000
	.long	2139095040                      ; 0x7f800000
	.long	2273312768                      ; 0x87800000
	.long	4286578688                      ; 0xff800000
	.long	0                               ; 0x0
	.long	251658240                       ; 0xf000000
	.long	4278190080                      ; 0xff000000
	.long	251658240                       ; 0xf000000
	.long	4278190080                      ; 0xff000000
	.long	0                               ; 0x0
	.long	503316480                       ; 0x1e000000
	.long	4261412864                      ; 0xfe000000
	.long	503316480                       ; 0x1e000000
	.long	4261412864                      ; 0xfe000000
	.long	0                               ; 0x0
	.long	1006632960                      ; 0x3c000000
	.long	4227858432                      ; 0xfc000000
	.long	1006632960                      ; 0x3c000000
	.long	4227858432                      ; 0xfc000000
	.long	0                               ; 0x0
	.long	2013265920                      ; 0x78000000
	.long	4160749568                      ; 0xf8000000
	.long	2013265920                      ; 0x78000000
	;; [unrolled: 5-line block ×4, first 2 shown]
	.long	3758096384                      ; 0xe0000000
	.long	0                               ; 0x0
	.long	0                               ; 0x0
	;; [unrolled: 1-line block ×3, first 2 shown]
	.long	51                              ; 0x33
	.long	771                             ; 0x303
	.long	0                               ; 0x0
	.long	0                               ; 0x0
	;; [unrolled: 1-line block ×3, first 2 shown]
	.long	102                             ; 0x66
	.long	1542                            ; 0x606
	.long	0                               ; 0x0
	.long	0                               ; 0x0
	.long	15                              ; 0xf
	.long	255                             ; 0xff
	.long	3855                            ; 0xf0f
	.long	0                               ; 0x0
	.long	0                               ; 0x0
	.long	30                              ; 0x1e
	;; [unrolled: 5-line block ×3, first 2 shown]
	.long	1020                            ; 0x3fc
	.long	15420                           ; 0x3c3c
	.long	0                               ; 0x0
	.long	0                               ; 0x0
	.long	120                             ; 0x78
	.long	2040                            ; 0x7f8
	.long	30840                           ; 0x7878
	.long	0                               ; 0x0
	.long	0                               ; 0x0
	.long	240                             ; 0xf0
	;; [unrolled: 5-line block ×3, first 2 shown]
	.long	8160                            ; 0x1fe0
	.long	123360                          ; 0x1e1e0
	.long	0                               ; 0x0
	.long	0                               ; 0x0
	.long	960                             ; 0x3c0
	.long	16320                           ; 0x3fc0
	.long	246720                          ; 0x3c3c0
	.long	0                               ; 0x0
	.long	0                               ; 0x0
	.long	1920                            ; 0x780
	.long	32640                           ; 0x7f80
	.long	493440                          ; 0x78780
	.long	0                               ; 0x0
	.long	0                               ; 0x0
	.long	3840                            ; 0xf00
	;; [unrolled: 5-line block ×3, first 2 shown]
	.long	130560                          ; 0x1fe00
	.long	1973760                         ; 0x1e1e00
	.long	0                               ; 0x0
	.long	0                               ; 0x0
	.long	15360                           ; 0x3c00
	.long	261120                          ; 0x3fc00
	.long	3947520                         ; 0x3c3c00
	.long	0                               ; 0x0
	.long	0                               ; 0x0
	.long	30720                           ; 0x7800
	;; [unrolled: 5-line block ×3, first 2 shown]
	.long	1044480                         ; 0xff000
	.long	15790080                        ; 0xf0f000
	.long	0                               ; 0x0
	.long	0                               ; 0x0
	.long	122880                          ; 0x1e000
	.long	2088960                         ; 0x1fe000
	.long	31580160                        ; 0x1e1e000
	.long	0                               ; 0x0
	.long	0                               ; 0x0
	.long	245760                          ; 0x3c000
	;; [unrolled: 5-line block ×3, first 2 shown]
	.long	8355840                         ; 0x7f8000
	.long	126320640                       ; 0x7878000
	.long	0                               ; 0x0
	.long	0                               ; 0x0
	.long	983040                          ; 0xf0000
	.long	16711680                        ; 0xff0000
	.long	252641280                       ; 0xf0f0000
	.long	0                               ; 0x0
	.long	0                               ; 0x0
	.long	1966080                         ; 0x1e0000
	.long	33423360                        ; 0x1fe0000
	.long	505282560                       ; 0x1e1e0000
	.long	0                               ; 0x0
	.long	0                               ; 0x0
	.long	3932160                         ; 0x3c0000
	.long	66846720                        ; 0x3fc0000
	.long	1010565120                      ; 0x3c3c0000
	.long	0                               ; 0x0
	.long	0                               ; 0x0
	.long	7864320                         ; 0x780000
	.long	133693440                       ; 0x7f80000
	.long	2021130240                      ; 0x78780000
	.long	0                               ; 0x0
	.long	0                               ; 0x0
	.long	15728640                        ; 0xf00000
	.long	267386880                       ; 0xff00000
	.long	4042260480                      ; 0xf0f00000
	.long	0                               ; 0x0
	.long	0                               ; 0x0
	.long	31457280                        ; 0x1e00000
	;; [unrolled: 5-line block ×3, first 2 shown]
	.long	1069547520                      ; 0x3fc00000
	.long	3284140032                      ; 0xc3c00000
	.long	0                               ; 0x0
	.long	0                               ; 0x0
	.long	125829120                       ; 0x7800000
	.long	2139095040                      ; 0x7f800000
	.long	2273312768                      ; 0x87800000
	.long	0                               ; 0x0
	.long	0                               ; 0x0
	.long	251658240                       ; 0xf000000
	.long	4278190080                      ; 0xff000000
	.long	251658240                       ; 0xf000000
	.long	0                               ; 0x0
	.long	0                               ; 0x0
	.long	503316480                       ; 0x1e000000
	.long	4261412864                      ; 0xfe000000
	.long	503316480                       ; 0x1e000000
	.long	0                               ; 0x0
	.long	0                               ; 0x0
	.long	1006632960                      ; 0x3c000000
	.long	4227858432                      ; 0xfc000000
	.long	1006632960                      ; 0x3c000000
	.long	0                               ; 0x0
	.long	0                               ; 0x0
	.long	2013265920                      ; 0x78000000
	.long	4160749568                      ; 0xf8000000
	.long	2013265920                      ; 0x78000000
	;; [unrolled: 5-line block ×4, first 2 shown]
	.long	0                               ; 0x0
	.long	0                               ; 0x0
	;; [unrolled: 1-line block ×4, first 2 shown]
	.long	51                              ; 0x33
	.long	0                               ; 0x0
	.long	0                               ; 0x0
	;; [unrolled: 1-line block ×4, first 2 shown]
	.long	102                             ; 0x66
	.long	0                               ; 0x0
	.long	0                               ; 0x0
	.long	0                               ; 0x0
	.long	15                              ; 0xf
	.long	255                             ; 0xff
	.long	0                               ; 0x0
	.long	0                               ; 0x0
	.long	0                               ; 0x0
	.long	30                              ; 0x1e
	;; [unrolled: 5-line block ×3, first 2 shown]
	.long	1020                            ; 0x3fc
	.long	0                               ; 0x0
	.long	0                               ; 0x0
	.long	0                               ; 0x0
	.long	120                             ; 0x78
	.long	2040                            ; 0x7f8
	.long	0                               ; 0x0
	.long	0                               ; 0x0
	.long	0                               ; 0x0
	.long	240                             ; 0xf0
	.long	4080                            ; 0xff0
	.long	0                               ; 0x0
	.long	0                               ; 0x0
	.long	0                               ; 0x0
	.long	480                             ; 0x1e0
	.long	8160                            ; 0x1fe0
	.long	0                               ; 0x0
	.long	0                               ; 0x0
	.long	0                               ; 0x0
	.long	960                             ; 0x3c0
	.long	16320                           ; 0x3fc0
	.long	0                               ; 0x0
	.long	0                               ; 0x0
	.long	0                               ; 0x0
	.long	1920                            ; 0x780
	.long	32640                           ; 0x7f80
	.long	0                               ; 0x0
	.long	0                               ; 0x0
	.long	0                               ; 0x0
	.long	3840                            ; 0xf00
	;; [unrolled: 5-line block ×3, first 2 shown]
	.long	130560                          ; 0x1fe00
	.long	0                               ; 0x0
	.long	0                               ; 0x0
	.long	0                               ; 0x0
	.long	15360                           ; 0x3c00
	.long	261120                          ; 0x3fc00
	.long	0                               ; 0x0
	.long	0                               ; 0x0
	.long	0                               ; 0x0
	.long	30720                           ; 0x7800
	.long	522240                          ; 0x7f800
	.long	0                               ; 0x0
	.long	0                               ; 0x0
	.long	0                               ; 0x0
	.long	61440                           ; 0xf000
	.long	1044480                         ; 0xff000
	.long	0                               ; 0x0
	.long	0                               ; 0x0
	.long	0                               ; 0x0
	.long	122880                          ; 0x1e000
	.long	2088960                         ; 0x1fe000
	.long	0                               ; 0x0
	.long	0                               ; 0x0
	.long	0                               ; 0x0
	.long	245760                          ; 0x3c000
	;; [unrolled: 5-line block ×4, first 2 shown]
	.long	16711680                        ; 0xff0000
	.long	0                               ; 0x0
	.long	0                               ; 0x0
	.long	0                               ; 0x0
	.long	1966080                         ; 0x1e0000
	.long	33423360                        ; 0x1fe0000
	.long	0                               ; 0x0
	.long	0                               ; 0x0
	.long	0                               ; 0x0
	.long	3932160                         ; 0x3c0000
	;; [unrolled: 5-line block ×3, first 2 shown]
	.long	133693440                       ; 0x7f80000
	.long	0                               ; 0x0
	.long	0                               ; 0x0
	.long	0                               ; 0x0
	.long	15728640                        ; 0xf00000
	.long	267386880                       ; 0xff00000
	.long	0                               ; 0x0
	.long	0                               ; 0x0
	.long	0                               ; 0x0
	.long	31457280                        ; 0x1e00000
	;; [unrolled: 5-line block ×3, first 2 shown]
	.long	1069547520                      ; 0x3fc00000
	.long	0                               ; 0x0
	.long	0                               ; 0x0
	.long	0                               ; 0x0
	.long	125829120                       ; 0x7800000
	.long	2139095040                      ; 0x7f800000
	.long	0                               ; 0x0
	.long	0                               ; 0x0
	.long	0                               ; 0x0
	.long	251658240                       ; 0xf000000
	;; [unrolled: 5-line block ×3, first 2 shown]
	.long	4261412864                      ; 0xfe000000
	.long	0                               ; 0x0
	.long	0                               ; 0x0
	.long	0                               ; 0x0
	.long	1006632960                      ; 0x3c000000
	.long	4227858432                      ; 0xfc000000
	.long	0                               ; 0x0
	.long	0                               ; 0x0
	.long	0                               ; 0x0
	.long	2013265920                      ; 0x78000000
	;; [unrolled: 5-line block ×4, first 2 shown]
	.long	3758096384                      ; 0xe0000000
	.long	0                               ; 0x0
	.long	0                               ; 0x0
	;; [unrolled: 1-line block ×14, first 2 shown]
	.long	15                              ; 0xf
	.long	0                               ; 0x0
	.long	0                               ; 0x0
	.long	0                               ; 0x0
	.long	0                               ; 0x0
	.long	30                              ; 0x1e
	.long	0                               ; 0x0
	.long	0                               ; 0x0
	.long	0                               ; 0x0
	.long	0                               ; 0x0
	;; [unrolled: 5-line block ×3, first 2 shown]
	.long	120                             ; 0x78
	.long	0                               ; 0x0
	.long	0                               ; 0x0
	.long	0                               ; 0x0
	.long	0                               ; 0x0
	.long	240                             ; 0xf0
	.long	0                               ; 0x0
	.long	0                               ; 0x0
	.long	0                               ; 0x0
	.long	0                               ; 0x0
	;; [unrolled: 5-line block ×4, first 2 shown]
	.long	1920                            ; 0x780
	.long	0                               ; 0x0
	.long	0                               ; 0x0
	.long	0                               ; 0x0
	.long	0                               ; 0x0
	.long	3840                            ; 0xf00
	.long	0                               ; 0x0
	.long	0                               ; 0x0
	.long	0                               ; 0x0
	.long	0                               ; 0x0
	;; [unrolled: 5-line block ×3, first 2 shown]
	.long	15360                           ; 0x3c00
	.long	0                               ; 0x0
	.long	0                               ; 0x0
	.long	0                               ; 0x0
	.long	0                               ; 0x0
	.long	30720                           ; 0x7800
	.long	0                               ; 0x0
	.long	0                               ; 0x0
	.long	0                               ; 0x0
	.long	0                               ; 0x0
	;; [unrolled: 5-line block ×3, first 2 shown]
	.long	122880                          ; 0x1e000
	.long	0                               ; 0x0
	.long	0                               ; 0x0
	.long	0                               ; 0x0
	.long	0                               ; 0x0
	.long	245760                          ; 0x3c000
	.long	0                               ; 0x0
	.long	0                               ; 0x0
	.long	0                               ; 0x0
	.long	0                               ; 0x0
	;; [unrolled: 5-line block ×4, first 2 shown]
	.long	1966080                         ; 0x1e0000
	.long	0                               ; 0x0
	.long	0                               ; 0x0
	.long	0                               ; 0x0
	.long	0                               ; 0x0
	.long	3932160                         ; 0x3c0000
	.long	0                               ; 0x0
	.long	0                               ; 0x0
	.long	0                               ; 0x0
	.long	0                               ; 0x0
	;; [unrolled: 5-line block ×3, first 2 shown]
	.long	15728640                        ; 0xf00000
	.long	0                               ; 0x0
	.long	0                               ; 0x0
	.long	0                               ; 0x0
	.long	0                               ; 0x0
	.long	31457280                        ; 0x1e00000
	.long	0                               ; 0x0
	.long	0                               ; 0x0
	.long	0                               ; 0x0
	.long	0                               ; 0x0
	;; [unrolled: 5-line block ×3, first 2 shown]
	.long	125829120                       ; 0x7800000
	.long	0                               ; 0x0
	.long	0                               ; 0x0
	.long	0                               ; 0x0
	.long	0                               ; 0x0
	.long	251658240                       ; 0xf000000
	.long	0                               ; 0x0
	.long	0                               ; 0x0
	.long	0                               ; 0x0
	.long	0                               ; 0x0
	;; [unrolled: 5-line block ×3, first 2 shown]
	.long	1006632960                      ; 0x3c000000
	.long	0                               ; 0x0
	.long	0                               ; 0x0
	.long	0                               ; 0x0
	.long	0                               ; 0x0
	.long	2013265920                      ; 0x78000000
	.long	0                               ; 0x0
	.long	0                               ; 0x0
	.long	0                               ; 0x0
	.long	0                               ; 0x0
	.long	4026531840                      ; 0xf0000000
	.long	0                               ; 0x0
	.long	0                               ; 0x0
	.long	0                               ; 0x0
	.long	0                               ; 0x0
	.long	3758096384                      ; 0xe0000000
	.long	1                               ; 0x1
	.long	17                              ; 0x11
	.long	257                             ; 0x101
	.long	4369                            ; 0x1111
	.long	65537                           ; 0x10001
	.long	2                               ; 0x2
	.long	34                              ; 0x22
	.long	514                             ; 0x202
	.long	8738                            ; 0x2222
	.long	131074                          ; 0x20002
	.long	4                               ; 0x4
	.long	68                              ; 0x44
	.long	1028                            ; 0x404
	.long	17476                           ; 0x4444
	.long	262148                          ; 0x40004
	.long	8                               ; 0x8
	.long	136                             ; 0x88
	.long	2056                            ; 0x808
	.long	34952                           ; 0x8888
	.long	524296                          ; 0x80008
	.long	16                              ; 0x10
	.long	272                             ; 0x110
	.long	4112                            ; 0x1010
	.long	69904                           ; 0x11110
	.long	1048592                         ; 0x100010
	.long	32                              ; 0x20
	.long	544                             ; 0x220
	.long	8224                            ; 0x2020
	.long	139808                          ; 0x22220
	.long	2097184                         ; 0x200020
	.long	64                              ; 0x40
	.long	1088                            ; 0x440
	.long	16448                           ; 0x4040
	.long	279616                          ; 0x44440
	.long	4194368                         ; 0x400040
	.long	128                             ; 0x80
	.long	2176                            ; 0x880
	.long	32896                           ; 0x8080
	.long	559232                          ; 0x88880
	.long	8388736                         ; 0x800080
	.long	256                             ; 0x100
	.long	4352                            ; 0x1100
	.long	65792                           ; 0x10100
	.long	1118464                         ; 0x111100
	.long	16777472                        ; 0x1000100
	.long	512                             ; 0x200
	.long	8704                            ; 0x2200
	.long	131584                          ; 0x20200
	.long	2236928                         ; 0x222200
	.long	33554944                        ; 0x2000200
	.long	1024                            ; 0x400
	.long	17408                           ; 0x4400
	.long	263168                          ; 0x40400
	.long	4473856                         ; 0x444400
	.long	67109888                        ; 0x4000400
	.long	2048                            ; 0x800
	.long	34816                           ; 0x8800
	.long	526336                          ; 0x80800
	.long	8947712                         ; 0x888800
	.long	134219776                       ; 0x8000800
	.long	4096                            ; 0x1000
	.long	69632                           ; 0x11000
	.long	1052672                         ; 0x101000
	.long	17895424                        ; 0x1111000
	.long	268439552                       ; 0x10001000
	.long	8192                            ; 0x2000
	.long	139264                          ; 0x22000
	.long	2105344                         ; 0x202000
	.long	35790848                        ; 0x2222000
	.long	536879104                       ; 0x20002000
	.long	16384                           ; 0x4000
	.long	278528                          ; 0x44000
	.long	4210688                         ; 0x404000
	.long	71581696                        ; 0x4444000
	.long	1073758208                      ; 0x40004000
	.long	32768                           ; 0x8000
	.long	557056                          ; 0x88000
	.long	8421376                         ; 0x808000
	.long	143163392                       ; 0x8888000
	.long	2147516416                      ; 0x80008000
	.long	65536                           ; 0x10000
	.long	1114112                         ; 0x110000
	.long	16842752                        ; 0x1010000
	.long	286326784                       ; 0x11110000
	.long	65536                           ; 0x10000
	.long	131072                          ; 0x20000
	.long	2228224                         ; 0x220000
	.long	33685504                        ; 0x2020000
	.long	572653568                       ; 0x22220000
	.long	131072                          ; 0x20000
	.long	262144                          ; 0x40000
	.long	4456448                         ; 0x440000
	.long	67371008                        ; 0x4040000
	.long	1145307136                      ; 0x44440000
	.long	262144                          ; 0x40000
	.long	524288                          ; 0x80000
	.long	8912896                         ; 0x880000
	.long	134742016                       ; 0x8080000
	.long	2290614272                      ; 0x88880000
	.long	524288                          ; 0x80000
	.long	1048576                         ; 0x100000
	.long	17825792                        ; 0x1100000
	.long	269484032                       ; 0x10100000
	.long	286261248                       ; 0x11100000
	.long	1048576                         ; 0x100000
	.long	2097152                         ; 0x200000
	.long	35651584                        ; 0x2200000
	.long	538968064                       ; 0x20200000
	.long	572522496                       ; 0x22200000
	.long	2097152                         ; 0x200000
	.long	4194304                         ; 0x400000
	.long	71303168                        ; 0x4400000
	.long	1077936128                      ; 0x40400000
	.long	1145044992                      ; 0x44400000
	.long	4194304                         ; 0x400000
	.long	8388608                         ; 0x800000
	.long	142606336                       ; 0x8800000
	.long	2155872256                      ; 0x80800000
	.long	2290089984                      ; 0x88800000
	.long	8388608                         ; 0x800000
	.long	16777216                        ; 0x1000000
	.long	285212672                       ; 0x11000000
	.long	16777216                        ; 0x1000000
	.long	285212672                       ; 0x11000000
	.long	16777216                        ; 0x1000000
	.long	33554432                        ; 0x2000000
	.long	570425344                       ; 0x22000000
	.long	33554432                        ; 0x2000000
	.long	570425344                       ; 0x22000000
	.long	33554432                        ; 0x2000000
	.long	67108864                        ; 0x4000000
	.long	1140850688                      ; 0x44000000
	.long	67108864                        ; 0x4000000
	.long	1140850688                      ; 0x44000000
	.long	67108864                        ; 0x4000000
	.long	134217728                       ; 0x8000000
	.long	2281701376                      ; 0x88000000
	.long	134217728                       ; 0x8000000
	.long	2281701376                      ; 0x88000000
	.long	134217728                       ; 0x8000000
	.long	268435456                       ; 0x10000000
	.long	268435456                       ; 0x10000000
	.long	268435456                       ; 0x10000000
	.long	268435456                       ; 0x10000000
	.long	268435456                       ; 0x10000000
	.long	536870912                       ; 0x20000000
	.long	536870912                       ; 0x20000000
	.long	536870912                       ; 0x20000000
	.long	536870912                       ; 0x20000000
	.long	536870912                       ; 0x20000000
	.long	1073741824                      ; 0x40000000
	.long	1073741824                      ; 0x40000000
	.long	1073741824                      ; 0x40000000
	.long	1073741824                      ; 0x40000000
	.long	1073741824                      ; 0x40000000
	.long	2147483648                      ; 0x80000000
	.long	2147483648                      ; 0x80000000
	.long	2147483648                      ; 0x80000000
	.long	2147483648                      ; 0x80000000
	.long	2147483648                      ; 0x80000000
	.long	85009117                        ; 0x51122dd
	.long	335741939                       ; 0x140303f3
	.long	1412632518                      ; 0x54330fc6
	.long	386859243                       ; 0x170f00eb
	.long	1741437244                      ; 0x67cc393c
	.long	152139416                       ; 0x9117698
	.long	403047142                       ; 0x180602e6
	.long	2556825231                      ; 0x98660e8f
	.long	505087203                       ; 0x1e1b04e3
	.long	4287193174                      ; 0xff896056
	.long	335609039                       ; 0x1400fccf
	.long	336528191                       ; 0x140f033f
	.long	1425998811                      ; 0x54ff03db
	.long	456920088                       ; 0x1b3c0c18
	.long	2832198590                      ; 0xa8cfebbe
	.long	724748988                       ; 0x2b32cabc
	.long	3625845630                      ; 0xd81e037e
	.long	1509824181                      ; 0x59fe16b5
	;; [unrolled: 1-line block ×12, first 2 shown]
	.long	972585080                       ; 0x39f87878
	.long	2793363314                      ; 0xa67f5772
	.long	1432000919                      ; 0x555a9997
	;; [unrolled: 1-line block ×10, first 2 shown]
	.long	429603751                       ; 0x199b3ba7
	.long	359294556                       ; 0x156a665c
	.long	62915520                        ; 0x3c003c0
	.long	1069562512                      ; 0x3fc03a90
	.long	3486502860                      ; 0xcfcfcfcc
	.long	859207501                       ; 0x3336774d
	.long	3939814584                      ; 0xead4ccb8
	.long	125831040                       ; 0x7800780
	.long	2139125024                      ; 0x7f807520
	.long	2678038424                      ; 0x9f9f9f98
	;; [unrolled: 1-line block ×3, first 2 shown]
	.long	363436400                       ; 0x15a99970
	.long	251662080                       ; 0xf000f00
	.long	4278250048                      ; 0xff00ea40
	.long	1061109552                      ; 0x3f3f3f30
	;; [unrolled: 1-line block ×4, first 2 shown]
	.long	503324160                       ; 0x1e001e00
	.long	4261532800                      ; 0xfe01d480
	.long	2122219104                      ; 0x7e7e7e60
	;; [unrolled: 1-line block ×3, first 2 shown]
	.long	380003776                       ; 0x16a665c0
	.long	1006648320                      ; 0x3c003c00
	.long	4228098304                      ; 0xfc03a900
	.long	4244438208                      ; 0xfcfcfcc0
	.long	3278337232                      ; 0xc36774d0
	.long	3981233024                      ; 0xed4ccb80
	.long	2013296640                      ; 0x78007800
	.long	4161229312                      ; 0xf8075200
	.long	4193909120                      ; 0xf9f9f980
	.long	2530142624                      ; 0x96cee9a0
	.long	446273280                       ; 0x1a999700
	.long	4026593280                      ; 0xf000f000
	.long	4027491328                      ; 0xf00ea400
	.long	871625472                       ; 0x33f3f300
	.long	4254978880                      ; 0xfd9dd340
	.long	4113772032                      ; 0xf5332e00
	.long	3758219264                      ; 0xe001e000
	.long	3760015360                      ; 0xe01d4800
	.long	2011686400                      ; 0x77e7e600
	.long	3946555008                      ; 0xeb3ba680
	.long	711351296                       ; 0x2a665c00
	.long	3221471232                      ; 0xc003c000
	.long	3225063424                      ; 0xc03a9000
	;; [unrolled: 1-line block ×3, first 2 shown]
	.long	108481792                       ; 0x6774d00
	.long	2496444416                      ; 0x94ccb800
	.long	2147975168                      ; 0x80078000
	;; [unrolled: 1-line block ×4, first 2 shown]
	.long	485399040                       ; 0x1cee9a00
	.long	3919147008                      ; 0xe9997000
	.long	983040                          ; 0xf0000
	.long	15351808                        ; 0xea4000
	.long	255799296                       ; 0xf3f3000
	.long	3923588096                      ; 0xe9dd3400
	.long	322101248                       ; 0x1332e000
	.long	1966080                         ; 0x1e0000
	.long	299139072                       ; 0x11d48000
	.long	511598592                       ; 0x1e7e6000
	.long	3283773440                      ; 0xc3ba6800
	.long	3865427968                      ; 0xe665c000
	.long	3932160                         ; 0x3c0000
	.long	4087939072                      ; 0xf3a90000
	.long	1023197184                      ; 0x3cfcc000
	;; [unrolled: 1-line block ×3, first 2 shown]
	.long	214663168                       ; 0xccb8000
	.long	7864320                         ; 0x780000
	.long	4149346304                      ; 0xf7520000
	.long	2046394368                      ; 0x79f98000
	;; [unrolled: 1-line block ×6, first 2 shown]
	.long	871563264                       ; 0x33f30000
	.long	2916302848                      ; 0xadd34000
	.long	1932394496                      ; 0x732e0000
	;; [unrolled: 1-line block ×6, first 2 shown]
	.long	643563520                       ; 0x265c0000
	.long	868220928                       ; 0x33c00000
	;; [unrolled: 1-line block ×3, first 2 shown]
	.long	4291559424                      ; 0xffcc0000
	.long	122486784                       ; 0x74d0000
	.long	2360868864                      ; 0x8cb80000
	.long	2004877312                      ; 0x77800000
	.long	85983232                        ; 0x5200000
	.long	4019716096                      ; 0xef980000
	.long	3734634496                      ; 0xde9a0000
	;; [unrolled: 1-line block ×5, first 2 shown]
	.long	254803968                       ; 0xf300000
	.long	2905866240                      ; 0xad340000
	.long	1658847232                      ; 0x62e00000
	;; [unrolled: 1-line block ×10, first 2 shown]
	.long	80740352                        ; 0x4d00000
	.long	2071986176                      ; 0x7b800000
	.long	4160749568                      ; 0xf8000000
	;; [unrolled: 1-line block ×3, first 2 shown]
	.long	964689920                       ; 0x39800000
	.long	429916160                       ; 0x19a00000
	.long	3875536896                      ; 0xe7000000
	.long	4026531840                      ; 0xf0000000
	;; [unrolled: 1-line block ×5, first 2 shown]
	.long	503316480                       ; 0x1e000000
	.long	3758096384                      ; 0xe0000000
	.long	2281701376                      ; 0x88000000
	;; [unrolled: 1-line block ×4, first 2 shown]
	.long	1316635                         ; 0x14171b
	.long	85009117                        ; 0x51122dd
	.long	335741939                       ; 0x140303f3
	.long	1412632518                      ; 0x54330fc6
	.long	386859243                       ; 0x170f00eb
	.long	1580547                         ; 0x181e03
	.long	152139416                       ; 0x9117698
	.long	403047142                       ; 0x180602e6
	.long	2556825231                      ; 0x98660e8f
	.long	505087203                       ; 0x1e1b04e3
	.long	1317672                         ; 0x141b28
	.long	335609039                       ; 0x1400fccf
	;; [unrolled: 5-line block ×3, first 2 shown]
	.long	3625845630                      ; 0xd81e037e
	.long	1509824181                      ; 0x59fe16b5
	;; [unrolled: 1-line block ×3, first 2 shown]
	.long	15612                           ; 0x3cfc
	.long	1431742057                      ; 0x5556a669
	.long	1077674236                      ; 0x403c00fc
	;; [unrolled: 1-line block ×4, first 2 shown]
	.long	31224                           ; 0x79f8
	.long	2863484114                      ; 0xaaad4cd2
	.long	1081606648                      ; 0x407801f8
	;; [unrolled: 1-line block ×3, first 2 shown]
	.long	972585080                       ; 0x39f87878
	.long	62451                           ; 0xf3f3
	.long	1432000919                      ; 0x555a9997
	.long	1089470704                      ; 0x40f000f0
	;; [unrolled: 1-line block ×4, first 2 shown]
	.long	124902                          ; 0x1e7e6
	.long	1790260014                      ; 0x6ab5332e
	.long	2178941408                      ; 0x81e001e0
	;; [unrolled: 1-line block ×4, first 2 shown]
	.long	249804                          ; 0x3cfcc
	.long	359294556                       ; 0x156a665c
	.long	62915520                        ; 0x3c003c0
	.long	1069562512                      ; 0x3fc03a90
	.long	3486502860                      ; 0xcfcfcfcc
	.long	499608                          ; 0x79f98
	.long	3939814584                      ; 0xead4ccb8
	.long	125831040                       ; 0x7800780
	.long	2139125024                      ; 0x7f807520
	.long	2678038424                      ; 0x9f9f9f98
	.long	999216                          ; 0xf3f30
	.long	363436400                       ; 0x15a99970
	.long	251662080                       ; 0xf000f00
	.long	4278250048                      ; 0xff00ea40
	.long	1061109552                      ; 0x3f3f3f30
	;; [unrolled: 1-line block ×4, first 2 shown]
	.long	503324160                       ; 0x1e001e00
	.long	4261532800                      ; 0xfe01d480
	.long	2122219104                      ; 0x7e7e7e60
	;; [unrolled: 1-line block ×3, first 2 shown]
	.long	380003776                       ; 0x16a665c0
	.long	1006648320                      ; 0x3c003c00
	.long	4228098304                      ; 0xfc03a900
	;; [unrolled: 1-line block ×9, first 2 shown]
	.long	446273280                       ; 0x1a999700
	.long	4026593280                      ; 0xf000f000
	.long	4027491328                      ; 0xf00ea400
	.long	871625472                       ; 0x33f3f300
	.long	2179458560                      ; 0x81e7e600
	.long	4113772032                      ; 0xf5332e00
	;; [unrolled: 1-line block ×5, first 2 shown]
	.long	63949824                        ; 0x3cfcc00
	.long	711351296                       ; 0x2a665c00
	.long	3221471232                      ; 0xc003c000
	.long	3225063424                      ; 0xc03a9000
	;; [unrolled: 1-line block ×3, first 2 shown]
	.long	127899648                       ; 0x79f9800
	.long	2496444416                      ; 0x94ccb800
	.long	2147975168                      ; 0x80078000
	.long	2155159552                      ; 0x80752000
	.long	4020213760                      ; 0xef9f9800
	.long	255799296                       ; 0xf3f3000
	.long	3919147008                      ; 0xe9997000
	.long	983040                          ; 0xf0000
	.long	15351808                        ; 0xea4000
	.long	255799296                       ; 0xf3f3000
	.long	3732824064                      ; 0xde7e6000
	.long	322101248                       ; 0x1332e000
	.long	1966080                         ; 0x1e0000
	.long	299139072                       ; 0x11d48000
	.long	511598592                       ; 0x1e7e6000
	.long	2096939008                      ; 0x7cfcc000
	.long	3865427968                      ; 0xe665c000
	.long	3932160                         ; 0x3c0000
	.long	4087939072                      ; 0xf3a90000
	.long	1023197184                      ; 0x3cfcc000
	.long	972652544                       ; 0x39f98000
	.long	214663168                       ; 0xccb8000
	.long	7864320                         ; 0x780000
	.long	4149346304                      ; 0xf7520000
	.long	2046394368                      ; 0x79f98000
	;; [unrolled: 1-line block ×6, first 2 shown]
	.long	871563264                       ; 0x33f30000
	.long	1743126528                      ; 0x67e60000
	.long	1932394496                      ; 0x732e0000
	;; [unrolled: 1-line block ×6, first 2 shown]
	.long	643563520                       ; 0x265c0000
	.long	868220928                       ; 0x33c00000
	;; [unrolled: 1-line block ×3, first 2 shown]
	.long	4291559424                      ; 0xffcc0000
	.long	2677538816                      ; 0x9f980000
	;; [unrolled: 1-line block ×4, first 2 shown]
	.long	85983232                        ; 0x5200000
	.long	4019716096                      ; 0xef980000
	.long	1060110336                      ; 0x3f300000
	;; [unrolled: 1-line block ×5, first 2 shown]
	.long	254803968                       ; 0xf300000
	.long	3193962496                      ; 0xbe600000
	.long	1658847232                      ; 0x62e00000
	;; [unrolled: 1-line block ×14, first 2 shown]
	.long	964689920                       ; 0x39800000
	.long	1929379840                      ; 0x73000000
	.long	3875536896                      ; 0xe7000000
	;; [unrolled: 1-line block ×6, first 2 shown]
	.long	503316480                       ; 0x1e000000
	.long	3758096384                      ; 0xe0000000
	.long	2281701376                      ; 0x88000000
	.long	4127195136                      ; 0xf6000000
	.long	332854                          ; 0x51436
	.long	1316635                         ; 0x14171b
	.long	85009117                        ; 0x51122dd
	.long	335741939                       ; 0x140303f3
	.long	1412632518                      ; 0x54330fc6
	.long	596079                          ; 0x9186f
	.long	1580547                         ; 0x181e03
	.long	152139416                       ; 0x9117698
	.long	403047142                       ; 0x180602e6
	.long	2556825231                      ; 0x98660e8f
	.long	1316075                         ; 0x1414eb
	.long	1317672                         ; 0x141b28
	.long	335609039                       ; 0x1400fccf
	.long	336528191                       ; 0x140f033f
	.long	1425998811                      ; 0x54ff03db
	.long	2824661                         ; 0x2b19d5
	.long	1574501                         ; 0x180665
	.long	724748988                       ; 0x2b32cabc
	.long	3625845630                      ; 0xd81e037e
	.long	1509824181                      ; 0x59fe16b5
	.long	5571497                         ; 0x5503a9
	.long	15612                           ; 0x3cfc
	.long	1431742057                      ; 0x5556a669
	.long	1077674236                      ; 0x403c00fc
	.long	1140592489                      ; 0x43fc0f69
	.long	11142994                        ; 0xaa0752
	.long	31224                           ; 0x79f8
	.long	2863484114                      ; 0xaaad4cd2
	.long	1081606648                      ; 0x407801f8
	.long	1207443154                      ; 0x47f81ed2
	.long	22285988                        ; 0x1540ea4
	;; [unrolled: 5-line block ×3, first 2 shown]
	.long	124902                          ; 0x1e7e6
	.long	1790260014                      ; 0x6ab5332e
	.long	2178941408                      ; 0x81e001e0
	;; [unrolled: 1-line block ×3, first 2 shown]
	.long	89143952                        ; 0x5503a90
	.long	249804                          ; 0x3cfcc
	.long	359294556                       ; 0x156a665c
	.long	62915520                        ; 0x3c003c0
	.long	1069562512                      ; 0x3fc03a90
	.long	178287904                       ; 0xaa07520
	.long	499608                          ; 0x79f98
	.long	3939814584                      ; 0xead4ccb8
	.long	125831040                       ; 0x7800780
	.long	2139125024                      ; 0x7f807520
	.long	356575808                       ; 0x1540ea40
	.long	999216                          ; 0xf3f30
	.long	363436400                       ; 0x15a99970
	.long	251662080                       ; 0xf000f00
	.long	4278250048                      ; 0xff00ea40
	.long	713151616                       ; 0x2a81d480
	.long	3223223904                      ; 0xc01e7e60
	.long	3948098272                      ; 0xeb5332e0
	.long	503324160                       ; 0x1e001e00
	.long	4261532800                      ; 0xfe01d480
	.long	1426303232                      ; 0x5503a900
	;; [unrolled: 1-line block ×3, first 2 shown]
	.long	380003776                       ; 0x16a665c0
	.long	1006648320                      ; 0x3c003c00
	.long	4228098304                      ; 0xfc03a900
	;; [unrolled: 1-line block ×9, first 2 shown]
	.long	446273280                       ; 0x1a999700
	.long	4026593280                      ; 0xf000f000
	.long	4027491328                      ; 0xf00ea400
	;; [unrolled: 1-line block ×7, first 2 shown]
	.long	272273408                       ; 0x103a9000
	.long	63949824                        ; 0x3cfcc00
	.long	711351296                       ; 0x2a665c00
	.long	3221471232                      ; 0xc003c000
	.long	3225063424                      ; 0xc03a9000
	;; [unrolled: 1-line block ×3, first 2 shown]
	.long	127899648                       ; 0x79f9800
	.long	2496444416                      ; 0x94ccb800
	.long	2147975168                      ; 0x80078000
	;; [unrolled: 1-line block ×3, first 2 shown]
	.long	15351808                        ; 0xea4000
	.long	255799296                       ; 0xf3f3000
	.long	3919147008                      ; 0xe9997000
	.long	983040                          ; 0xf0000
	.long	15351808                        ; 0xea4000
	.long	3251929088                      ; 0xc1d48000
	.long	3732824064                      ; 0xde7e6000
	.long	322101248                       ; 0x1332e000
	.long	1966080                         ; 0x1e0000
	.long	299139072                       ; 0x11d48000
	.long	1135149056                      ; 0x43a90000
	.long	2096939008                      ; 0x7cfcc000
	;; [unrolled: 1-line block ×3, first 2 shown]
	.long	3932160                         ; 0x3c0000
	.long	4087939072                      ; 0xf3a90000
	.long	1196556288                      ; 0x47520000
	.long	972652544                       ; 0x39f98000
	.long	214663168                       ; 0xccb8000
	.long	7864320                         ; 0x780000
	.long	4149346304                      ; 0xf7520000
	.long	1319370752                      ; 0x4ea40000
	;; [unrolled: 1-line block ×11, first 2 shown]
	.long	982515712                       ; 0x3a900000
	.long	3486253056                      ; 0xcfcc0000
	.long	643563520                       ; 0x265c0000
	.long	868220928                       ; 0x33c00000
	;; [unrolled: 1-line block ×3, first 2 shown]
	.long	1965031424                      ; 0x75200000
	.long	2677538816                      ; 0x9f980000
	;; [unrolled: 1-line block ×4, first 2 shown]
	.long	85983232                        ; 0x5200000
	.long	3930062848                      ; 0xea400000
	.long	1060110336                      ; 0x3f300000
	;; [unrolled: 1-line block ×27, first 2 shown]
	.long	503316480                       ; 0x1e000000
	.long	3758096384                      ; 0xe0000000
	.long	2281701376                      ; 0x88000000
	.long	5123                            ; 0x1403
	.long	332854                          ; 0x51436
	.long	1316635                         ; 0x14171b
	.long	85009117                        ; 0x51122dd
	.long	335741939                       ; 0x140303f3
	.long	6150                            ; 0x1806
	.long	596079                          ; 0x9186f
	.long	1580547                         ; 0x181e03
	.long	152139416                       ; 0x9117698
	.long	403047142                       ; 0x180602e6
	.long	5135                            ; 0x140f
	.long	1316075                         ; 0x1414eb
	.long	1317672                         ; 0x141b28
	.long	335609039                       ; 0x1400fccf
	.long	336528191                       ; 0x140f033f
	.long	6174                            ; 0x181e
	.long	2824661                         ; 0x2b19d5
	.long	1574501                         ; 0x180665
	.long	724748988                       ; 0x2b32cabc
	.long	3625845630                      ; 0xd81e037e
	.long	60                              ; 0x3c
	.long	5571497                         ; 0x5503a9
	.long	15612                           ; 0x3cfc
	.long	1431742057                      ; 0x5556a669
	.long	1077674236                      ; 0x403c00fc
	.long	120                             ; 0x78
	.long	11142994                        ; 0xaa0752
	.long	31224                           ; 0x79f8
	.long	2863484114                      ; 0xaaad4cd2
	.long	1081606648                      ; 0x407801f8
	.long	240                             ; 0xf0
	.long	22285988                        ; 0x1540ea4
	;; [unrolled: 5-line block ×3, first 2 shown]
	.long	124902                          ; 0x1e7e6
	.long	1790260014                      ; 0x6ab5332e
	.long	2178941408                      ; 0x81e001e0
	.long	960                             ; 0x3c0
	.long	89143952                        ; 0x5503a90
	.long	249804                          ; 0x3cfcc
	.long	359294556                       ; 0x156a665c
	.long	62915520                        ; 0x3c003c0
	.long	1920                            ; 0x780
	.long	178287904                       ; 0xaa07520
	.long	499608                          ; 0x79f98
	.long	3939814584                      ; 0xead4ccb8
	.long	125831040                       ; 0x7800780
	.long	3840                            ; 0xf00
	.long	356575808                       ; 0x1540ea40
	.long	999216                          ; 0xf3f30
	.long	363436400                       ; 0x15a99970
	.long	251662080                       ; 0xf000f00
	.long	7680                            ; 0x1e00
	.long	713151616                       ; 0x2a81d480
	.long	3223223904                      ; 0xc01e7e60
	.long	3948098272                      ; 0xeb5332e0
	.long	503324160                       ; 0x1e001e00
	.long	15360                           ; 0x3c00
	.long	1426303232                      ; 0x5503a900
	.long	1077738688                      ; 0x403cfcc0
	.long	380003776                       ; 0x16a665c0
	.long	1006648320                      ; 0x3c003c00
	.long	30720                           ; 0x7800
	.long	2852606464                      ; 0xaa075200
	.long	1081735552                      ; 0x4079f980
	;; [unrolled: 1-line block ×4, first 2 shown]
	.long	61440                           ; 0xf000
	.long	1410245632                      ; 0x540ea400
	.long	1089729280                      ; 0x40f3f300
	.long	446273280                       ; 0x1a999700
	.long	4026593280                      ; 0xf000f000
	.long	122880                          ; 0x1e000
	.long	1746749440                      ; 0x681d4800
	.long	2179458560                      ; 0x81e7e600
	;; [unrolled: 1-line block ×4, first 2 shown]
	.long	245760                          ; 0x3c000
	.long	272273408                       ; 0x103a9000
	.long	63949824                        ; 0x3cfcc00
	.long	711351296                       ; 0x2a665c00
	.long	3221471232                      ; 0xc003c000
	.long	491520                          ; 0x78000
	.long	3765772288                      ; 0xe0752000
	.long	127899648                       ; 0x79f9800
	.long	2496444416                      ; 0x94ccb800
	.long	2147975168                      ; 0x80078000
	.long	983040                          ; 0xf0000
	.long	15351808                        ; 0xea4000
	.long	255799296                       ; 0xf3f3000
	.long	3919147008                      ; 0xe9997000
	.long	983040                          ; 0xf0000
	.long	3223191552                      ; 0xc01e0000
	.long	3251929088                      ; 0xc1d48000
	;; [unrolled: 1-line block ×3, first 2 shown]
	.long	322101248                       ; 0x1332e000
	.long	1966080                         ; 0x1e0000
	.long	1077673984                      ; 0x403c0000
	.long	1135149056                      ; 0x43a90000
	;; [unrolled: 1-line block ×4, first 2 shown]
	.long	3932160                         ; 0x3c0000
	.long	1081606144                      ; 0x40780000
	.long	1196556288                      ; 0x47520000
	.long	972652544                       ; 0x39f98000
	.long	214663168                       ; 0xccb8000
	.long	7864320                         ; 0x780000
	.long	1089470464                      ; 0x40f00000
	.long	1319370752                      ; 0x4ea40000
	;; [unrolled: 1-line block ×10, first 2 shown]
	.long	62914560                        ; 0x3c00000
	.long	982515712                       ; 0x3a900000
	.long	3486253056                      ; 0xcfcc0000
	.long	643563520                       ; 0x265c0000
	.long	868220928                       ; 0x33c00000
	;; [unrolled: 1-line block ×3, first 2 shown]
	.long	1965031424                      ; 0x75200000
	.long	2677538816                      ; 0x9f980000
	;; [unrolled: 1-line block ×4, first 2 shown]
	.long	251658240                       ; 0xf000000
	.long	3930062848                      ; 0xea400000
	.long	1060110336                      ; 0x3f300000
	;; [unrolled: 1-line block ×4, first 2 shown]
	.long	503316480                       ; 0x1e000000
	.long	3565158400                      ; 0xd4800000
	.long	3193962496                      ; 0xbe600000
	;; [unrolled: 1-line block ×22, first 2 shown]
	.long	503316480                       ; 0x1e000000
	.long	3758096384                      ; 0xe0000000
	.long	201392209                       ; 0xc010051
	.long	3423671362                      ; 0xcc111442
	;; [unrolled: 2-line block ×3, first 2 shown]
	.long	206572594                       ; 0xc500c32
	.long	402785186                       ; 0x180203a2
	.long	2552372100                      ; 0x98221b84
	.long	436928947                       ; 0x1a0b01b3
	.long	3130605370                      ; 0xba993f3a
	.long	463476848                       ; 0x1ba01870
	.long	262468                          ; 0x40144
	.long	4461835                         ; 0x44150b
	.long	68158800                        ; 0x4100550
	.long	1158700908                      ; 0x45105f6c
	.long	20971524                        ; 0x1400004
	.long	524680                          ; 0x80188
	.long	8919318                         ; 0x881916
	.long	136513955                       ; 0x82309a3
	.long	2316537326                      ; 0x8a138dee
	.long	25165852                        ; 0x180001c
	.long	3222274064                      ; 0xc0100010
	.long	3239051564                      ; 0xc110012c
	;; [unrolled: 1-line block ×10, first 2 shown]
	.long	4194368                         ; 0x400040
	.long	71304368                        ; 0x44004b0
	.long	1091846420                      ; 0x41144114
	.long	1347462055                      ; 0x5050a3a7
	.long	64                              ; 0x40
	.long	8388736                         ; 0x800080
	.long	142608736                       ; 0x8800960
	.long	2183692840                      ; 0x82288228
	.long	2694924110                      ; 0xa0a1474e
	;; [unrolled: 1-line block ×3, first 2 shown]
	.long	16777472                        ; 0x1000100
	.long	285217472                       ; 0x110012c0
	.long	72418384                        ; 0x4510450
	.long	1094880924                      ; 0x41428e9c
	.long	1342177536                      ; 0x50000100
	.long	33554944                        ; 0x2000200
	.long	570434944                       ; 0x22002580
	.long	144836768                       ; 0x8a208a0
	.long	2189761848                      ; 0x82851d38
	.long	2684355072                      ; 0xa0000200
	.long	67109888                        ; 0x4000400
	.long	1140869888                      ; 0x44004b00
	.long	289673536                       ; 0x11441140
	.long	84556400                        ; 0x50a3a70
	.long	1073742848                      ; 0x40000400
	.long	134219776                       ; 0x8000800
	.long	2281739776                      ; 0x88009600
	.long	579347072                       ; 0x22882280
	.long	169112800                       ; 0xa1474e0
	.long	2147485696                      ; 0x80000800
	.long	268439552                       ; 0x10001000
	.long	268512256                       ; 0x10012c00
	.long	1158694144                      ; 0x45104500
	.long	69790144                        ; 0x428e9c0
	.long	4096                            ; 0x1000
	.long	536879104                       ; 0x20002000
	.long	537024512                       ; 0x20025800
	.long	2317388288                      ; 0x8a208a00
	.long	3360805760                      ; 0xc851d380
	.long	8192                            ; 0x2000
	.long	1073758208                      ; 0x40004000
	.long	1074049024                      ; 0x4004b000
	.long	339809280                       ; 0x14411400
	.long	1352902400                      ; 0x50a3a700
	.long	16384                           ; 0x4000
	.long	2147516416                      ; 0x80008000
	.long	2148098048                      ; 0x80096000
	;; [unrolled: 1-line block ×4, first 2 shown]
	.long	32768                           ; 0x8000
	.long	65536                           ; 0x10000
	.long	1228800                         ; 0x12c000
	.long	17059840                        ; 0x1045000
	.long	311335936                       ; 0x128e9c00
	.long	65536                           ; 0x10000
	.long	131072                          ; 0x20000
	.long	2457600                         ; 0x258000
	.long	34119680                        ; 0x208a000
	.long	622671872                       ; 0x251d3800
	.long	131072                          ; 0x20000
	.long	262144                          ; 0x40000
	.long	4915200                         ; 0x4b0000
	.long	68239360                        ; 0x4114000
	.long	1245343744                      ; 0x4a3a7000
	.long	262144                          ; 0x40000
	.long	524288                          ; 0x80000
	.long	9830400                         ; 0x960000
	.long	136478720                       ; 0x8228000
	.long	2490687488                      ; 0x9474e000
	.long	524288                          ; 0x80000
	.long	1048576                         ; 0x100000
	.long	288096256                       ; 0x112c0000
	.long	272957440                       ; 0x10450000
	;; [unrolled: 1-line block ×3, first 2 shown]
	.long	3222274048                      ; 0xc0100000
	.long	2097152                         ; 0x200000
	.long	3797417984                      ; 0xe2580000
	.long	545914880                       ; 0x208a0000
	.long	2983428096                      ; 0xb1d38000
	.long	2149580800                      ; 0x80200000
	.long	4194304                         ; 0x400000
	.long	78643200                        ; 0x4b00000
	.long	1091829760                      ; 0x41140000
	.long	2745630720                      ; 0xa3a70000
	.long	4194304                         ; 0x400000
	.long	3229614080                      ; 0xc0800000
	.long	3378511872                      ; 0xc9600000
	;; [unrolled: 1-line block ×4, first 2 shown]
	.long	8388608                         ; 0x800000
	.long	1358954496                      ; 0x51000000
	.long	1119879168                      ; 0x42c00000
	;; [unrolled: 1-line block ×3, first 2 shown]
	.long	513540096                       ; 0x1e9c0000
	.long	16777216                        ; 0x1000000
	.long	2717908992                      ; 0xa2000000
	.long	2239758336                      ; 0x85800000
	;; [unrolled: 1-line block ×4, first 2 shown]
	.long	33554432                        ; 0x2000000
	.long	1140850688                      ; 0x44000000
	.long	184549376                       ; 0xb000000
	.long	1363148800                      ; 0x51400000
	.long	2054160384                      ; 0x7a700000
	;; [unrolled: 1-line block ×4, first 2 shown]
	.long	369098752                       ; 0x16000000
	.long	2726297600                      ; 0xa2800000
	.long	4108320768                      ; 0xf4e00000
	;; [unrolled: 1-line block ×3, first 2 shown]
	.long	268435456                       ; 0x10000000
	.long	738197504                       ; 0x2c000000
	.long	2231369728                      ; 0x85000000
	.long	968884224                       ; 0x39c00000
	.long	3959422976                      ; 0xec000000
	;; [unrolled: 2-line block ×4, first 2 shown]
	.long	3355443200                      ; 0xc8000000
	.long	1073741824                      ; 0x40000000
	;; [unrolled: 1-line block ×3, first 2 shown]
	.long	335544320                       ; 0x14000000
	.long	1728053248                      ; 0x67000000
	.long	2147483648                      ; 0x80000000
	;; [unrolled: 1-line block ×5, first 2 shown]
	.long	503316480                       ; 0x1e000000
	.long	0                               ; 0x0
	.long	1939838472                      ; 0x739f9608
	.long	1412147404                      ; 0x542ba8cc
	.long	166205219                       ; 0x9e81723
	.long	1757484276                      ; 0x68c114f4
	.long	2905930693                      ; 0xad34fbc5
	;; [unrolled: 1-line block ×4, first 2 shown]
	.long	253454719                       ; 0xf1b697f
	.long	2661974169                      ; 0x9eaa8099
	.long	303781080                       ; 0x121b54d8
	.long	4075331504                      ; 0xf2e89fb0
	.long	31014156                        ; 0x1d93d0c
	.long	244538930                       ; 0xe935e32
	.long	3752264221                      ; 0xdfa7021d
	.long	992575155                       ; 0x3b297eb3
	.long	219309525                       ; 0xd1265d5
	;; [unrolled: 1-line block ×4, first 2 shown]
	.long	4125020723                      ; 0xf5ded233
	.long	2016731730                      ; 0x7834e252
	.long	3236558869                      ; 0xc0e9f815
	.long	297169276                       ; 0x11b6717c
	.long	3293566751                      ; 0xc44fd71f
	.long	1867504216                      ; 0x6f4fda58
	.long	210423272                       ; 0xc8acde8
	.long	2531663658                      ; 0x96e61f2a
	.long	499723753                       ; 0x1dc92de9
	;; [unrolled: 2-line block ×3, first 2 shown]
	.long	3388575408                      ; 0xc9f98eb0
	.long	2433358422                      ; 0x910a1a56
	.long	1368961148                      ; 0x5198b07c
	.long	3134096848                      ; 0xbace85d0
	.long	2827836415                      ; 0xa88d5bff
	.long	3888822753                      ; 0xe7cab9e1
	.long	4172043647                      ; 0xf8ac557f
	.long	3379360748                      ; 0xc96cf3ec
	.long	2651760955                      ; 0x9e0ea93b
	.long	1345081091                      ; 0x502c4f03
	.long	627692776                       ; 0x2569d4e8
	.long	189423917                       ; 0xb4a612d
	.long	1927379456                      ; 0x72e17a00
	.long	4004336944                      ; 0xeead5530
	;; [unrolled: 1-line block ×11, first 2 shown]
	.long	943986992                       ; 0x38441930
	.long	3169912733                      ; 0xbcf1079d
	.long	2631635779                      ; 0x9cdb9343
	;; [unrolled: 1-line block ×10, first 2 shown]
	.long	937322456                       ; 0x37de67d8
	.long	3802094750                      ; 0xe29f5c9e
	.long	1145506936                      ; 0x44470c78
	;; [unrolled: 1-line block ×4, first 2 shown]
	.long	645739137                       ; 0x267d3281
	.long	1356219146                      ; 0x50d6430a
	.long	827886816                       ; 0x31588ce0
	.long	1722154800                      ; 0x66a5ff30
	.long	2242776733                      ; 0x85ae0e9d
	.long	754630810                       ; 0x2cfac09a
	.long	772070504                       ; 0x2e04dc68
	;; [unrolled: 1-line block ×3, first 2 shown]
	.long	2608123425                      ; 0x9b74ce21
	.long	2087201889                      ; 0x7c682c61
	;; [unrolled: 1-line block ×4, first 2 shown]
	.long	841433255                       ; 0x322740a7
	.long	477543427                       ; 0x1c76bc03
	.long	1878882709                      ; 0x6ffd7995
	.long	705347364                       ; 0x2a0abf24
	.long	4003860146                      ; 0xeea60eb2
	.long	3194913138                      ; 0xbe6e8172
	.long	2616490007                      ; 0x9bf47817
	.long	357561212                       ; 0x154ff37c
	.long	2446098297                      ; 0x91cc7f79
	.long	2955680594                      ; 0xb02c1b52
	;; [unrolled: 4-line block ×3, first 2 shown]
	.long	612108672                       ; 0x247c0980
	.long	2455017713                      ; 0x925498f1
	.long	1749147666                      ; 0x6841e012
	;; [unrolled: 1-line block ×4, first 2 shown]
	.long	499405095                       ; 0x1dc45127
	.long	1837614076                      ; 0x6d87c3fc
	.long	1227604028                      ; 0x492bc03c
	.long	714577577                       ; 0x2a9796a9
	.long	165950208                       ; 0x9e43300
	;; [unrolled: 1-line block ×5, first 2 shown]
	.long	42151250                        ; 0x2832d52
	.long	426862080                       ; 0x19716600
	.long	2810242474                      ; 0xa780e5aa
	.long	4112075489                      ; 0xf5194ae1
	;; [unrolled: 1-line block ×4, first 2 shown]
	.long	982512636                       ; 0x3a8ff3fc
	.long	500792667                       ; 0x1dd97d5b
	.long	4286077681                      ; 0xff785af1
	.long	198050301                       ; 0xbce01fd
	.long	1858712743                      ; 0x6ec9b4a7
	.long	2913642493                      ; 0xadaaa7fd
	.long	3547545255                      ; 0xd3733ea7
	.long	3981929169                      ; 0xed576ad1
	.long	2944140287                      ; 0xaf7c03ff
	.long	2286578015                      ; 0x884a695f
	.long	3422343167                      ; 0xcbfccfff
	.long	1239123295                      ; 0x49db855f
	.long	2026367394                      ; 0x78c7e9a2
	.long	3269986302                      ; 0xc2e807fe
	.long	3028402878                      ; 0xb481c2be
	.long	2709637886                      ; 0xa181cafe
	.long	1096011710                      ; 0x4153cfbe
	.long	294584132                       ; 0x118eff44
	.long	3086749695                      ; 0xb7fc0fff
	.long	3324400975                      ; 0xc626554f
	;; [unrolled: 1-line block ×4, first 2 shown]
	.long	543687304                       ; 0x20680288
	.long	4008517630                      ; 0xeeed1ffe
	.long	836370334                       ; 0x31d9ff9e
	.long	1876426750                      ; 0x6fd7fffe
	.long	2362048414                      ; 0x8cc9ff9e
	;; [unrolled: 1-line block ×9, first 2 shown]
	.long	697661816                       ; 0x29957978
	.long	1336049656                      ; 0x4fa27ff8
	.long	3309365624                      ; 0xc540e978
	.long	4259639360                      ; 0xfde4f040
	.long	3423548400                      ; 0xcc0f33f0
	.long	2416417776                      ; 0x90079bf0
	.long	1633698800                      ; 0x616043f0
	.long	1630071792                      ; 0x6128ebf0
	.long	41950336                        ; 0x2801c80
	.long	3423478496                      ; 0xcc0e22e0
	.long	2885608160                      ; 0xabfee2e0
	;; [unrolled: 1-line block ×3, first 2 shown]
	.long	677380832                       ; 0x286002e0
	.long	4179285363                      ; 0xf91ad573
	.long	1939838472                      ; 0x739f9608
	;; [unrolled: 1-line block ×3, first 2 shown]
	.long	166205219                       ; 0x9e81723
	.long	1757484276                      ; 0x68c114f4
	.long	3838244595                      ; 0xe4c6f6f3
	;; [unrolled: 1-line block ×4, first 2 shown]
	.long	253454719                       ; 0xf1b697f
	.long	2661974169                      ; 0x9eaa8099
	.long	138737288                       ; 0x844f688
	.long	4075331504                      ; 0xf2e89fb0
	.long	31014156                        ; 0x1d93d0c
	.long	244538930                       ; 0xe935e32
	.long	3752264221                      ; 0xdfa7021d
	.long	1503392345                      ; 0x599bf259
	.long	219309525                       ; 0xd1265d5
	.long	246620060                       ; 0xeb31f9c
	;; [unrolled: 1-line block ×3, first 2 shown]
	.long	4125020723                      ; 0xf5ded233
	.long	1759481152                      ; 0x68df8d40
	;; [unrolled: 1-line block ×3, first 2 shown]
	.long	297169276                       ; 0x11b6717c
	.long	3293566751                      ; 0xc44fd71f
	.long	1867504216                      ; 0x6f4fda58
	;; [unrolled: 1-line block ×4, first 2 shown]
	.long	499723753                       ; 0x1dc92de9
	.long	1730625896                      ; 0x67274168
	.long	189236880                       ; 0xb478690
	.long	2610231010                      ; 0x9b94f6e2
	.long	2433358422                      ; 0x910a1a56
	.long	1368961148                      ; 0x5198b07c
	.long	3134096848                      ; 0xbace85d0
	.long	2827836415                      ; 0xa88d5bff
	.long	3903474593                      ; 0xe8aa4ba1
	.long	4172043647                      ; 0xf8ac557f
	.long	3379360748                      ; 0xc96cf3ec
	.long	2651760955                      ; 0x9e0ea93b
	.long	1345081091                      ; 0x502c4f03
	.long	1267864331                      ; 0x4b92130b
	.long	189423917                       ; 0xb4a612d
	.long	1927379456                      ; 0x72e17a00
	.long	4004336944                      ; 0xeead5530
	.long	2995932065                      ; 0xb2924ba1
	.long	3452816347                      ; 0xcdcdcbdb
	.long	2551113616                      ; 0x980ee790
	.long	1576396048                      ; 0x5df5e510
	.long	1299792730                      ; 0x4d79435a
	.long	2151240795                      ; 0x8039545b
	.long	1222520631                      ; 0x48de2f37
	.long	4292139924                      ; 0xffd4db94
	.long	3555849728                      ; 0xd3f1f600
	.long	943986992                       ; 0x38441930
	.long	3169912733                      ; 0xbcf1079d
	.long	3260130211                      ; 0xc251a3a3
	.long	3478094562                      ; 0xcf4f82e2
	.long	1285558544                      ; 0x4ca01110
	.long	3716074330                      ; 0xdd7ecb5a
	.long	2780749859                      ; 0xa5bee023
	.long	3039362306                      ; 0xb528fd02
	.long	4175656994                      ; 0xf8e37822
	.long	1731832828                      ; 0x6739abfc
	.long	1275401375                      ; 0x4c05149f
	.long	937322456                       ; 0x37de67d8
	.long	3236754932                      ; 0xc0ecf5f4
	.long	1145506936                      ; 0x44470c78
	;; [unrolled: 1-line block ×4, first 2 shown]
	.long	645739137                       ; 0x267d3281
	.long	1358079399                      ; 0x50f2a5a7
	.long	827886816                       ; 0x31588ce0
	.long	1722154800                      ; 0x66a5ff30
	.long	2242776733                      ; 0x85ae0e9d
	.long	754630810                       ; 0x2cfac09a
	.long	1748663943                      ; 0x683a7e87
	.long	249481170                       ; 0xedec7d2
	.long	2608123425                      ; 0x9b74ce21
	.long	2087201889                      ; 0x7c682c61
	;; [unrolled: 1-line block ×3, first 2 shown]
	.long	698076610                       ; 0x299bcdc2
	.long	841433255                       ; 0x322740a7
	;; [unrolled: 1-line block ×3, first 2 shown]
	.long	1878882709                      ; 0x6ffd7995
	.long	705347364                       ; 0x2a0abf24
	.long	3692794996                      ; 0xdc1b9474
	.long	3194913138                      ; 0xbe6e8172
	.long	2616490007                      ; 0x9bf47817
	.long	357561212                       ; 0x154ff37c
	.long	2446098297                      ; 0x91cc7f79
	.long	2771068186                      ; 0xa52b251a
	;; [unrolled: 4-line block ×3, first 2 shown]
	.long	27937268                        ; 0x1aa49f4
	.long	2455017713                      ; 0x925498f1
	.long	1749147666                      ; 0x6841e012
	;; [unrolled: 1-line block ×7, first 2 shown]
	.long	714577577                       ; 0x2a9796a9
	.long	165950208                       ; 0x9e43300
	.long	528340088                       ; 0x1f7dd478
	.long	489077752                       ; 0x1d26bbf8
	.long	216760440                       ; 0xceb8078
	.long	42151250                        ; 0x2832d52
	.long	426862080                       ; 0x19716600
	.long	1646215396                      ; 0x621f40e4
	.long	4112075489                      ; 0xf5194ae1
	;; [unrolled: 1-line block ×4, first 2 shown]
	.long	982512636                       ; 0x3a8ff3fc
	.long	2095821304                      ; 0x7cebb1f8
	.long	4286077681                      ; 0xff785af1
	.long	198050301                       ; 0xbce01fd
	.long	1858712743                      ; 0x6ec9b4a7
	.long	2913642493                      ; 0xadaaa7fd
	.long	277300160                       ; 0x108743c0
	.long	3981929169                      ; 0xed576ad1
	.long	2944140287                      ; 0xaf7c03ff
	.long	2286578015                      ; 0x884a695f
	.long	3422343167                      ; 0xcbfccfff
	;; [unrolled: 1-line block ×8, first 2 shown]
	.long	294584132                       ; 0x118eff44
	.long	3086749695                      ; 0xb7fc0fff
	.long	3324400975                      ; 0xc626554f
	;; [unrolled: 1-line block ×3, first 2 shown]
	.long	136978944                       ; 0x82a2200
	.long	543687304                       ; 0x20680288
	.long	4008517630                      ; 0xeeed1ffe
	.long	836370334                       ; 0x31d9ff9e
	.long	1876426750                      ; 0x6fd7fffe
	.long	3275253760                      ; 0xc3386800
	;; [unrolled: 1-line block ×9, first 2 shown]
	.long	697661816                       ; 0x29957978
	.long	1336049656                      ; 0x4fa27ff8
	.long	3265045504                      ; 0xc29ca400
	.long	4259639360                      ; 0xfde4f040
	.long	3423548400                      ; 0xcc0f33f0
	.long	2416417776                      ; 0x90079bf0
	.long	1633698800                      ; 0x616043f0
	.long	3943712768                      ; 0xeb104800
	.long	41950336                        ; 0x2801c80
	.long	3423478496                      ; 0xcc0e22e0
	.long	2885608160                      ; 0xabfee2e0
	;; [unrolled: 1-line block ×7, first 2 shown]
	.long	166205219                       ; 0x9e81723
	.long	715714152                       ; 0x2aa8ee68
	.long	3838244595                      ; 0xe4c6f6f3
	.long	2345662040                      ; 0x8bcff658
	;; [unrolled: 1-line block ×3, first 2 shown]
	.long	253454719                       ; 0xf1b697f
	.long	3758048260                      ; 0xdfff4404
	.long	138737288                       ; 0x844f688
	.long	4075331504                      ; 0xf2e89fb0
	.long	31014156                        ; 0x1d93d0c
	.long	244538930                       ; 0xe935e32
	.long	370671650                       ; 0x16180022
	.long	1503392345                      ; 0x599bf259
	.long	219309525                       ; 0xd1265d5
	.long	246620060                       ; 0xeb31f9c
	;; [unrolled: 1-line block ×3, first 2 shown]
	.long	2219162331                      ; 0x8445badb
	.long	1759481152                      ; 0x68df8d40
	;; [unrolled: 1-line block ×3, first 2 shown]
	.long	297169276                       ; 0x11b6717c
	.long	3293566751                      ; 0xc44fd71f
	.long	135243402                       ; 0x80fa68a
	.long	3898070400                      ; 0xe857d580
	.long	2531663658                      ; 0x96e61f2a
	.long	499723753                       ; 0x1dc92de9
	.long	1730625896                      ; 0x67274168
	.long	3142293713                      ; 0xbb4b98d1
	;; [unrolled: 1-line block ×6, first 2 shown]
	.long	486949791                       ; 0x1d06439f
	.long	3903474593                      ; 0xe8aa4ba1
	.long	4172043647                      ; 0xf8ac557f
	;; [unrolled: 1-line block ×6, first 2 shown]
	.long	189423917                       ; 0xb4a612d
	.long	1927379456                      ; 0x72e17a00
	.long	4004336944                      ; 0xeead5530
	.long	191463910                       ; 0xb6981e6
	.long	3452816347                      ; 0xcdcdcbdb
	.long	2551113616                      ; 0x980ee790
	;; [unrolled: 1-line block ×4, first 2 shown]
	.long	4411574                         ; 0x4350b6
	.long	1222520631                      ; 0x48de2f37
	.long	4292139924                      ; 0xffd4db94
	;; [unrolled: 1-line block ×3, first 2 shown]
	.long	943986992                       ; 0x38441930
	.long	3073348038                      ; 0xb72f91c6
	.long	3260130211                      ; 0xc251a3a3
	;; [unrolled: 1-line block ×10, first 2 shown]
	.long	468159532                       ; 0x1be78c2c
	.long	3236754932                      ; 0xc0ecf5f4
	.long	1145506936                      ; 0x44470c78
	;; [unrolled: 1-line block ×6, first 2 shown]
	.long	827886816                       ; 0x31588ce0
	.long	1722154800                      ; 0x66a5ff30
	.long	2242776733                      ; 0x85ae0e9d
	.long	53128947                        ; 0x32aaef3
	.long	1748663943                      ; 0x683a7e87
	.long	249481170                       ; 0xedec7d2
	.long	2608123425                      ; 0x9b74ce21
	.long	2087201889                      ; 0x7c682c61
	;; [unrolled: 1-line block ×3, first 2 shown]
	.long	698076610                       ; 0x299bcdc2
	.long	841433255                       ; 0x322740a7
	;; [unrolled: 1-line block ×3, first 2 shown]
	.long	1878882709                      ; 0x6ffd7995
	.long	1505419004                      ; 0x59badefc
	;; [unrolled: 1-line block ×5, first 2 shown]
	.long	357561212                       ; 0x154ff37c
	.long	2823143358                      ; 0xa845bfbe
	.long	2771068186                      ; 0xa52b251a
	;; [unrolled: 1-line block ×3, first 2 shown]
	.long	637464579                       ; 0x25fef003
	.long	1209132455                      ; 0x4811e5a7
	.long	1991737212                      ; 0x76b77f7c
	.long	27937268                        ; 0x1aa49f4
	.long	2455017713                      ; 0x925498f1
	.long	1749147666                      ; 0x6841e012
	;; [unrolled: 1-line block ×7, first 2 shown]
	.long	714577577                       ; 0x2a9796a9
	.long	3633969112                      ; 0xd899f7d8
	.long	528340088                       ; 0x1f7dd478
	.long	489077752                       ; 0x1d26bbf8
	;; [unrolled: 1-line block ×3, first 2 shown]
	.long	42151250                        ; 0x2832d52
	.long	2886728356                      ; 0xac0ffaa4
	.long	1646215396                      ; 0x621f40e4
	;; [unrolled: 1-line block ×8, first 2 shown]
	.long	198050301                       ; 0xbce01fd
	.long	1858712743                      ; 0x6ec9b4a7
	.long	1463806912                      ; 0x573febc0
	.long	277300160                       ; 0x108743c0
	.long	3981929169                      ; 0xed576ad1
	.long	2944140287                      ; 0xaf7c03ff
	;; [unrolled: 1-line block ×10, first 2 shown]
	.long	294584132                       ; 0x118eff44
	.long	3086749695                      ; 0xb7fc0fff
	.long	3324400975                      ; 0xc626554f
	;; [unrolled: 1-line block ×3, first 2 shown]
	.long	136978944                       ; 0x82a2200
	.long	543687304                       ; 0x20680288
	.long	4008517630                      ; 0xeeed1ffe
	.long	836370334                       ; 0x31d9ff9e
	.long	2978609152                      ; 0xb189f800
	.long	3275253760                      ; 0xc3386800
	;; [unrolled: 1-line block ×9, first 2 shown]
	.long	697661816                       ; 0x29957978
	.long	1086645248                      ; 0x40c4e400
	.long	3265045504                      ; 0xc29ca400
	;; [unrolled: 1-line block ×7, first 2 shown]
	.long	41950336                        ; 0x2801c80
	.long	3423478496                      ; 0xcc0e22e0
	.long	2885608160                      ; 0xabfee2e0
	;; [unrolled: 1-line block ×8, first 2 shown]
	.long	715714152                       ; 0x2aa8ee68
	.long	3838244595                      ; 0xe4c6f6f3
	.long	2345662040                      ; 0x8bcff658
	;; [unrolled: 1-line block ×5, first 2 shown]
	.long	138737288                       ; 0x844f688
	.long	4075331504                      ; 0xf2e89fb0
	.long	31014156                        ; 0x1d93d0c
	.long	2257801369                      ; 0x86935099
	.long	370671650                       ; 0x16180022
	.long	1503392345                      ; 0x599bf259
	.long	219309525                       ; 0xd1265d5
	.long	246620060                       ; 0xeb31f9c
	.long	1375177854                      ; 0x51f78c7e
	.long	2219162331                      ; 0x8445badb
	;; [unrolled: 1-line block ×4, first 2 shown]
	.long	297169276                       ; 0x11b6717c
	.long	2981812236                      ; 0xb1bad80c
	.long	135243402                       ; 0x80fa68a
	.long	3898070400                      ; 0xe857d580
	.long	2531663658                      ; 0x96e61f2a
	.long	499723753                       ; 0x1dc92de9
	.long	1103465850                      ; 0x41c58d7a
	.long	3142293713                      ; 0xbb4b98d1
	;; [unrolled: 1-line block ×6, first 2 shown]
	.long	486949791                       ; 0x1d06439f
	.long	3903474593                      ; 0xe8aa4ba1
	.long	4172043647                      ; 0xf8ac557f
	;; [unrolled: 1-line block ×6, first 2 shown]
	.long	189423917                       ; 0xb4a612d
	.long	1927379456                      ; 0x72e17a00
	.long	1359812359                      ; 0x510d1707
	.long	191463910                       ; 0xb6981e6
	.long	3452816347                      ; 0xcdcdcbdb
	.long	2551113616                      ; 0x980ee790
	.long	1576396048                      ; 0x5df5e510
	.long	2518549525                      ; 0x961e0415
	.long	4411574                         ; 0x4350b6
	.long	1222520631                      ; 0x48de2f37
	.long	4292139924                      ; 0xffd4db94
	;; [unrolled: 1-line block ×3, first 2 shown]
	.long	949028615                       ; 0x38910707
	.long	3073348038                      ; 0xb72f91c6
	.long	3260130211                      ; 0xc251a3a3
	;; [unrolled: 1-line block ×10, first 2 shown]
	.long	468159532                       ; 0x1be78c2c
	.long	3236754932                      ; 0xc0ecf5f4
	.long	1145506936                      ; 0x44470c78
	;; [unrolled: 1-line block ×6, first 2 shown]
	.long	827886816                       ; 0x31588ce0
	.long	1722154800                      ; 0x66a5ff30
	.long	1069547583                      ; 0x3fc0003f
	.long	53128947                        ; 0x32aaef3
	.long	1748663943                      ; 0x683a7e87
	.long	249481170                       ; 0xedec7d2
	.long	2608123425                      ; 0x9b74ce21
	.long	3162506114                      ; 0xbc800382
	;; [unrolled: 1-line block ×3, first 2 shown]
	.long	698076610                       ; 0x299bcdc2
	.long	841433255                       ; 0x322740a7
	.long	477543427                       ; 0x1c76bc03
	.long	3641706484                      ; 0xd91007f4
	.long	1505419004                      ; 0x59badefc
	;; [unrolled: 1-line block ×9, first 2 shown]
	.long	637464579                       ; 0x25fef003
	.long	16785012                        ; 0x1001e74
	.long	1991737212                      ; 0x76b77f7c
	.long	27937268                        ; 0x1aa49f4
	.long	2455017713                      ; 0x925498f1
	.long	1749147666                      ; 0x6841e012
	;; [unrolled: 1-line block ×9, first 2 shown]
	.long	528340088                       ; 0x1f7dd478
	.long	489077752                       ; 0x1d26bbf8
	;; [unrolled: 1-line block ×3, first 2 shown]
	.long	3628134628                      ; 0xd840f0e4
	.long	2886728356                      ; 0xac0ffaa4
	.long	1646215396                      ; 0x621f40e4
	.long	4112075489                      ; 0xf5194ae1
	.long	3514761468                      ; 0xd17f00fc
	.long	1602085368                      ; 0x5f7de1f8
	.long	3507686008                      ; 0xd1130a78
	.long	2095821304                      ; 0x7cebb1f8
	.long	4286077681                      ; 0xff785af1
	.long	198050301                       ; 0xbce01fd
	.long	2501362624                      ; 0x9517c3c0
	.long	1463806912                      ; 0x573febc0
	.long	277300160                       ; 0x108743c0
	.long	3981929169                      ; 0xed576ad1
	.long	2944140287                      ; 0xaf7c03ff
	;; [unrolled: 1-line block ×10, first 2 shown]
	.long	294584132                       ; 0x118eff44
	.long	3086749695                      ; 0xb7fc0fff
	.long	366387712                       ; 0x15d6a200
	.long	4274031104                      ; 0xfec08a00
	.long	136978944                       ; 0x82a2200
	.long	543687304                       ; 0x20680288
	.long	4008517630                      ; 0xeeed1ffe
	.long	1006135296                      ; 0x3bf86800
	;; [unrolled: 1-line block ×19, first 2 shown]
	.long	41950336                        ; 0x2801c80
	.long	3423478496                      ; 0xcc0e22e0
	.long	989898496                       ; 0x3b00a700
	.long	3410688577                      ; 0xcb4afa41
	.long	2331788830                      ; 0x8afc461e
	;; [unrolled: 1-line block ×3, first 2 shown]
	.long	813828841                       ; 0x30820ae9
	.long	1865093068                      ; 0x6f2b0fcc
	.long	3265457506                      ; 0xc2a2ed62
	.long	3795669738                      ; 0xe23d52ea
	.long	2119696024                      ; 0x7e57fe98
	.long	4285651426                      ; 0xff71d9e2
	.long	3333834629                      ; 0xc6b64785
	.long	3451487261                      ; 0xcdb9841d
	.long	2090324595                      ; 0x7c97d273
	.long	1816963648                      ; 0x6c4caa40
	.long	932961512                       ; 0x379bdce8
	.long	2470761029                      ; 0x9344d245
	.long	3401764108                      ; 0xcac2cd0c
	.long	3421619354                      ; 0xcbf1c49a
	.long	4199624502                      ; 0xfa512f36
	.long	589386372                       ; 0x23215284
	.long	879396240                       ; 0x346a8590
	.long	3372470254                      ; 0xc903cfee
	.long	2693109296                      ; 0xa0859630
	;; [unrolled: 1-line block ×3, first 2 shown]
	.long	38442268                        ; 0x24a951c
	.long	1882087724                      ; 0x702e612c
	.long	171397600                       ; 0xa3751e0
	.long	2024561281                      ; 0x78ac5a81
	.long	183095586                       ; 0xae9d122
	.long	3282207272                      ; 0xc3a28228
	.long	3402177296                      ; 0xcac91b10
	.long	1859195498                      ; 0x6ed1126a
	.long	413109947                       ; 0x189f8ebb
	.long	2839537944                      ; 0xa93fe918
	.long	1632143648                      ; 0x61488920
	;; [unrolled: 4-line block ×3, first 2 shown]
	.long	3826785440                      ; 0xe4181ca0
	.long	2896086528                      ; 0xac9ec600
	;; [unrolled: 1-line block ×13, first 2 shown]
	.long	708088129                       ; 0x2a349141
	.long	1501395566                      ; 0x597d7a6e
	.long	1302184960                      ; 0x4d9dc400
	;; [unrolled: 1-line block ×7, first 2 shown]
	.long	869212432                       ; 0x33cf2110
	.long	150548847                       ; 0x8f9316f
	.long	1097557362                      ; 0x416b6572
	.long	655939640                       ; 0x2718d838
	.long	316553344                       ; 0x12de3880
	.long	3761918508                      ; 0xe03a522c
	.long	3958338094                      ; 0xebef722e
	.long	141744600                       ; 0x872d9d8
	.long	1412214640                      ; 0x542caf70
	.long	1859689984                      ; 0x6ed89e00
	;; [unrolled: 1-line block ×4, first 2 shown]
	.long	999801880                       ; 0x3b97c418
	.long	3946079738                      ; 0xeb3465fa
	.long	1876072704                      ; 0x6fd29900
	.long	194381849                       ; 0xb960819
	.long	2177533995                      ; 0x81ca882b
	.long	1584707624                      ; 0x5e74b828
	;; [unrolled: 1-line block ×8, first 2 shown]
	.long	194975744                       ; 0xb9f1800
	.long	1731731470                      ; 0x6738200e
	.long	4168755162                      ; 0xf87a27da
	.long	2628944732                      ; 0x9cb2835c
	.long	2125675784                      ; 0x7eb33d08
	.long	3119906816                      ; 0xb9f60000
	.long	960774145                       ; 0x39444001
	.long	2646626078                      ; 0x9dc04f1e
	.long	2152793157                      ; 0x80510445
	;; [unrolled: 1-line block ×3, first 2 shown]
	.long	672464896                       ; 0x28150000
	.long	3046932493                      ; 0xb59c800d
	.long	3700727536                      ; 0xdc949ef0
	;; [unrolled: 1-line block ×3, first 2 shown]
	.long	575986696                       ; 0x2254dc08
	.long	671940608                       ; 0x280d0000
	.long	2208366608                      ; 0x83a10010
	.long	1454456125                      ; 0x56b13d3d
	.long	937760016                       ; 0x37e51510
	.long	4103979069                      ; 0xf49dc03d
	.long	2737668096                      ; 0xa32d8000
	;; [unrolled: 1-line block ×10, first 2 shown]
	.long	140658149                       ; 0x86245e5
	.long	4254138368                      ; 0xfd910000
	.long	1745354889                      ; 0x68080089
	.long	711584249                       ; 0x2a69e9f9
	.long	2746523017                      ; 0xa3b49d89
	.long	2551006457                      ; 0x980d44f9
	;; [unrolled: 1-line block ×6, first 2 shown]
	.long	976716737                       ; 0x3a3783c1
	.long	2653421568                      ; 0x9e280000
	.long	3806331426                      ; 0xe2e00222
	;; [unrolled: 1-line block ×6, first 2 shown]
	.long	286262340                       ; 0x11100444
	.long	2300534532                      ; 0x891f5f04
	.long	4206449732                      ; 0xfab95444
	.long	15339268                        ; 0xea0f04
	.long	2894069760                      ; 0xac800000
	.long	488376456                       ; 0x1d1c0888
	.long	1489927688                      ; 0x58ce7e08
	.long	1196583048                      ; 0x47526888
	.long	652746248                       ; 0x26e81e08
	.long	2214592512                      ; 0x84000000
	.long	69904                           ; 0x11110
	.long	1006205200                      ; 0x3bf97910
	.long	2322628880                      ; 0x8a708110
	;; [unrolled: 1-line block ×7, first 2 shown]
	.long	386199072                       ; 0x1704ee20
	.long	1744830464                      ; 0x68000000
	.long	1342444608                      ; 0x50041440
	;; [unrolled: 1-line block ×24, first 2 shown]
	.long	717518631                       ; 0x2ac47727
	.long	2401090860                      ; 0x8f1dbd2c
	.long	3606967204                      ; 0xd6fdf3a4
	.long	952637656                       ; 0x38c818d8
	.long	59827581                        ; 0x390e57d
	.long	1291486682                      ; 0x4cfa85da
	.long	1499453515                      ; 0x595fd84b
	;; [unrolled: 1-line block ×3, first 2 shown]
	.long	563998083                       ; 0x219ded83
	.long	4094000396                      ; 0xf4057d0c
	.long	1163546899                      ; 0x455a5113
	;; [unrolled: 1-line block ×3, first 2 shown]
	.long	654565639                       ; 0x2703e107
	.long	1070907026                      ; 0x3fd4be92
	.long	4217851863                      ; 0xfb674fd7
	.long	426034251                       ; 0x1964c44b
	.long	1721352737                      ; 0x6699c221
	.long	278404469                       ; 0x10981d75
	.long	3899800390                      ; 0xe8723b46
	.long	1063362170                      ; 0x3f619e7a
	;; [unrolled: 1-line block ×5, first 2 shown]
	.long	186674553                       ; 0xb206d79
	.long	2616406148                      ; 0x9bf33084
	.long	3137968354                      ; 0xbb0998e2
	;; [unrolled: 1-line block ×7, first 2 shown]
	.long	719586342                       ; 0x2ae40426
	.long	2602548287                      ; 0x9b1fbc3f
	.long	3386583150                      ; 0xc9db286e
	.long	355354345                       ; 0x152e46e9
	.long	3252815848                      ; 0xc1e207e8
	.long	2178056037                      ; 0x81d27f65
	;; [unrolled: 1-line block ×5, first 2 shown]
	.long	802791670                       ; 0x2fd9a0f6
	.long	251122316                       ; 0xef7d28c
	.long	3705188626                      ; 0xdcd8b112
	.long	1252262272                      ; 0x4aa40180
	;; [unrolled: 1-line block ×8, first 2 shown]
	.long	209341805                       ; 0xc7a4d6d
	.long	1820357643                      ; 0x6c80740b
	.long	3712392731                      ; 0xdd469e1b
	.long	685796521                       ; 0x28e06ca9
	.long	1322920440                      ; 0x4eda29f8
	.long	814388470                       ; 0x308a94f6
	;; [unrolled: 2-line block ×3, first 2 shown]
	.long	2650681935                      ; 0x9dfe324f
	.long	1371566728                      ; 0x51c07288
	.long	58783716                        ; 0x380f7e4
	.long	2273435933                      ; 0x8781e11d
	.long	3498513198                      ; 0xd087132e
	.long	792571900                       ; 0x2f3daffc
	.long	1447808772                      ; 0x564bcf04
	.long	3513385860                      ; 0xd16a0384
	.long	99175889                        ; 0x5e94dd1
	.long	1105434360                      ; 0x41e396f8
	.long	1484146625                      ; 0x587647c1
	;; [unrolled: 1-line block ×3, first 2 shown]
	.long	242672513                       ; 0xe76e381
	.long	3552105593                      ; 0xd3b8d479
	.long	1425844616                      ; 0x54fca988
	;; [unrolled: 1-line block ×4, first 2 shown]
	.long	607610433                       ; 0x24376641
	.long	2130018608                      ; 0x7ef58130
	.long	1610235673                      ; 0x5ffa3f19
	;; [unrolled: 1-line block ×4, first 2 shown]
	.long	994392866                       ; 0x3b453b22
	.long	450823250                       ; 0x1adf0452
	.long	2912535126                      ; 0xad99c256
	.long	2574390988                      ; 0x997216cc
	;; [unrolled: 1-line block ×3, first 2 shown]
	.long	78696582                        ; 0x4b0d086
	.long	649682891                       ; 0x26b95fcb
	.long	3980917176                      ; 0xed47f9b8
	.long	3221419689                      ; 0xc002f6a9
	.long	960695436                       ; 0x39430c8c
	.long	729221508                       ; 0x2b770984
	;; [unrolled: 1-line block ×3, first 2 shown]
	.long	3392407691                      ; 0xca34088b
	.long	472711005                       ; 0x1c2cff5d
	.long	295914899                       ; 0x11a34d93
	.long	3005191796                      ; 0xb31f9674
	.long	3078521977                      ; 0xb77e8479
	;; [unrolled: 1-line block ×3, first 2 shown]
	.long	509135340                       ; 0x1e58c9ec
	.long	1965939519                      ; 0x752ddb3f
	.long	2086465877                      ; 0x7c5cf155
	;; [unrolled: 1-line block ×4, first 2 shown]
	.long	762289386                       ; 0x2d6f9cea
	.long	3618693997                      ; 0xd7b0e36d
	.long	233730715                       ; 0xdee729b
	.long	2873984650                      ; 0xab4d868a
	.long	31168606                        ; 0x1db985e
	.long	3367142977                      ; 0xc8b28641
	.long	2851851305                      ; 0xa9fbcc29
	;; [unrolled: 1-line block ×5, first 2 shown]
	.long	901235185                       ; 0x35b7c1f1
	.long	1564391510                      ; 0x5d3eb856
	.long	2352686527                      ; 0x8c3b25bf
	;; [unrolled: 1-line block ×3, first 2 shown]
	.long	578573310                       ; 0x227c53fe
	.long	3462447127                      ; 0xce60c017
	.long	2482873876                      ; 0x93fda614
	;; [unrolled: 1-line block ×8, first 2 shown]
	.long	519905259                       ; 0x1efd1feb
	.long	3184556473                      ; 0xbdd079b9
	.long	1076378339                      ; 0x40283ae3
	;; [unrolled: 1-line block ×3, first 2 shown]
	.long	970097715                       ; 0x39d28433
	.long	4013407916                      ; 0xef37beac
	.long	4014350363                      ; 0xef46201b
	.long	2476927059                      ; 0x93a2e853
	.long	1989070516                      ; 0x768eceb4
	.long	2640060069                      ; 0x9d5c1ea5
	.long	1987784589                      ; 0x767b2f8d
	.long	1880989003                      ; 0x701d9d4b
	.long	3861138803                      ; 0xe6244d73
	.long	451743296                       ; 0x1aed0e40
	.long	1987067871                      ; 0x76703fdf
	.long	1975657871                      ; 0x75c2258f
	;; [unrolled: 1-line block ×12, first 2 shown]
	.long	611557097                       ; 0x24739ee9
	.long	3789871366                      ; 0xe1e4d906
	.long	4246691682                      ; 0xfd1f5f62
	;; [unrolled: 1-line block ×8, first 2 shown]
	.long	717518631                       ; 0x2ac47727
	.long	2460955430                      ; 0x92af3326
	.long	3606967204                      ; 0xd6fdf3a4
	.long	952637656                       ; 0x38c818d8
	.long	59827581                        ; 0x390e57d
	.long	1291486682                      ; 0x4cfa85da
	.long	3531087304                      ; 0xd2781dc8
	;; [unrolled: 1-line block ×3, first 2 shown]
	.long	563998083                       ; 0x219ded83
	.long	4094000396                      ; 0xf4057d0c
	.long	1163546899                      ; 0x455a5113
	;; [unrolled: 1-line block ×3, first 2 shown]
	.long	654565639                       ; 0x2703e107
	.long	1070907026                      ; 0x3fd4be92
	.long	4217851863                      ; 0xfb674fd7
	.long	426034251                       ; 0x1964c44b
	.long	3034416129                      ; 0xb4dd8401
	.long	278404469                       ; 0x10981d75
	.long	3899800390                      ; 0xe8723b46
	.long	1063362170                      ; 0x3f619e7a
	;; [unrolled: 1-line block ×5, first 2 shown]
	.long	186674553                       ; 0xb206d79
	.long	2616406148                      ; 0x9bf33084
	.long	3137968354                      ; 0xbb0998e2
	.long	639885806                       ; 0x2623e1ee
	.long	1495068058                      ; 0x591ced9a
	.long	3033760361                      ; 0xb4d38269
	;; [unrolled: 1-line block ×7, first 2 shown]
	.long	355354345                       ; 0x152e46e9
	.long	3252815848                      ; 0xc1e207e8
	.long	1555885880                      ; 0x5cbcef38
	;; [unrolled: 1-line block ×5, first 2 shown]
	.long	802791670                       ; 0x2fd9a0f6
	.long	2948774612                      ; 0xafc2bad4
	.long	3705188626                      ; 0xdcd8b112
	;; [unrolled: 1-line block ×9, first 2 shown]
	.long	209341805                       ; 0xc7a4d6d
	.long	3763367196                      ; 0xe0506d1c
	.long	3712392731                      ; 0xdd469e1b
	.long	685796521                       ; 0x28e06ca9
	.long	1322920440                      ; 0x4eda29f8
	.long	814388470                       ; 0x308a94f6
	.long	1986168339                      ; 0x76628613
	.long	434430265                       ; 0x19e4e139
	.long	2650681935                      ; 0x9dfe324f
	.long	1371566728                      ; 0x51c07288
	.long	58783716                        ; 0x380f7e4
	.long	1423189187                      ; 0x54d424c3
	.long	3498513198                      ; 0xd087132e
	.long	792571900                       ; 0x2f3daffc
	.long	1447808772                      ; 0x564bcf04
	.long	3513385860                      ; 0xd16a0384
	.long	315969823                       ; 0x12d5511f
	.long	1105434360                      ; 0x41e396f8
	.long	1484146625                      ; 0x587647c1
	.long	3327194068                      ; 0xc650f3d4
	.long	242672513                       ; 0xe76e381
	.long	3336228275                      ; 0xc6dacdb3
	.long	1425844616                      ; 0x54fca988
	.long	2871928454                      ; 0xab2e2686
	.long	1124633561                      ; 0x43088bd9
	.long	607610433                       ; 0x24376641
	.long	1762052458                      ; 0x6906c96a
	;; [unrolled: 5-line block ×3, first 2 shown]
	.long	2912535126                      ; 0xad99c256
	.long	2574390988                      ; 0x997216cc
	;; [unrolled: 1-line block ×3, first 2 shown]
	.long	78696582                        ; 0x4b0d086
	.long	1626628844                      ; 0x60f462ec
	.long	3980917176                      ; 0xed47f9b8
	;; [unrolled: 1-line block ×3, first 2 shown]
	.long	960695436                       ; 0x39430c8c
	.long	729221508                       ; 0x2b770984
	;; [unrolled: 1-line block ×3, first 2 shown]
	.long	3392407691                      ; 0xca34088b
	.long	472711005                       ; 0x1c2cff5d
	.long	295914899                       ; 0x11a34d93
	.long	3005191796                      ; 0xb31f9674
	.long	514297204                       ; 0x1ea78d74
	.long	3370011868                      ; 0xc8de4cdc
	;; [unrolled: 2-line block ×3, first 2 shown]
	.long	2086465877                      ; 0x7c5cf155
	.long	3975975091                      ; 0xecfc90b3
	;; [unrolled: 1-line block ×3, first 2 shown]
	.long	762289386                       ; 0x2d6f9cea
	.long	3618693997                      ; 0xd7b0e36d
	.long	233730715                       ; 0xdee729b
	.long	455322516                       ; 0x1b23ab94
	.long	31168606                        ; 0x1db985e
	.long	3367142977                      ; 0xc8b28641
	.long	2851851305                      ; 0xa9fbcc29
	;; [unrolled: 1-line block ×5, first 2 shown]
	.long	901235185                       ; 0x35b7c1f1
	.long	1564391510                      ; 0x5d3eb856
	.long	2352686527                      ; 0x8c3b25bf
	.long	826181452                       ; 0x313e874c
	.long	578573310                       ; 0x227c53fe
	.long	3462447127                      ; 0xce60c017
	.long	2482873876                      ; 0x93fda614
	;; [unrolled: 1-line block ×8, first 2 shown]
	.long	877718651                       ; 0x3450ec7b
	.long	3184556473                      ; 0xbdd079b9
	.long	1076378339                      ; 0x40283ae3
	.long	2692926127                      ; 0xa082caaf
	.long	970097715                       ; 0x39d28433
	.long	299344245                       ; 0x11d7a175
	.long	4014350363                      ; 0xef46201b
	.long	2476927059                      ; 0x93a2e853
	;; [unrolled: 1-line block ×7, first 2 shown]
	.long	451743296                       ; 0x1aed0e40
	.long	1987067871                      ; 0x76703fdf
	.long	3272848161                      ; 0xc313b321
	;; [unrolled: 1-line block ×6, first 2 shown]
	.long	834288064                       ; 0x31ba39c0
	.long	2621772886                      ; 0x9c451456
	.long	1804684571                      ; 0x6b914d1b
	;; [unrolled: 1-line block ×4, first 2 shown]
	.long	304865970                       ; 0x122be2b2
	.long	611557097                       ; 0x24739ee9
	.long	3789871366                      ; 0xe1e4d906
	.long	4246691682                      ; 0xfd1f5f62
	;; [unrolled: 1-line block ×11, first 2 shown]
	.long	952637656                       ; 0x38c818d8
	.long	59827581                        ; 0x390e57d
	.long	2349212526                      ; 0x8c06236e
	.long	3531087304                      ; 0xd2781dc8
	;; [unrolled: 1-line block ×3, first 2 shown]
	.long	563998083                       ; 0x219ded83
	.long	4094000396                      ; 0xf4057d0c
	.long	4028900485                      ; 0xf0242485
	;; [unrolled: 1-line block ×3, first 2 shown]
	.long	654565639                       ; 0x2703e107
	.long	1070907026                      ; 0x3fd4be92
	.long	4217851863                      ; 0xfb674fd7
	;; [unrolled: 1-line block ×4, first 2 shown]
	.long	278404469                       ; 0x10981d75
	.long	3899800390                      ; 0xe8723b46
	.long	1063362170                      ; 0x3f619e7a
	;; [unrolled: 1-line block ×5, first 2 shown]
	.long	186674553                       ; 0xb206d79
	.long	2616406148                      ; 0x9bf33084
	.long	4228837490                      ; 0xfc0ef072
	.long	639885806                       ; 0x2623e1ee
	.long	1495068058                      ; 0x591ced9a
	.long	3033760361                      ; 0xb4d38269
	;; [unrolled: 1-line block ×7, first 2 shown]
	.long	355354345                       ; 0x152e46e9
	.long	1815256314                      ; 0x6c329cfa
	.long	1555885880                      ; 0x5cbcef38
	;; [unrolled: 1-line block ×10, first 2 shown]
	.long	751187322                       ; 0x2cc6357a
	.long	2107826711                      ; 0x7da2e217
	.long	1447170583                      ; 0x56421217
	;; [unrolled: 1-line block ×7, first 2 shown]
	.long	685796521                       ; 0x28e06ca9
	.long	1322920440                      ; 0x4eda29f8
	.long	936300677                       ; 0x37ced085
	.long	1986168339                      ; 0x76628613
	;; [unrolled: 2-line block ×3, first 2 shown]
	.long	1371566728                      ; 0x51c07288
	.long	1308015359                      ; 0x4df6baff
	;; [unrolled: 1-line block ×4, first 2 shown]
	.long	792571900                       ; 0x2f3daffc
	.long	1447808772                      ; 0x564bcf04
	.long	3065349526                      ; 0xb6b58596
	.long	315969823                       ; 0x12d5511f
	.long	1105434360                      ; 0x41e396f8
	.long	1484146625                      ; 0x587647c1
	;; [unrolled: 1-line block ×22, first 2 shown]
	.long	960695436                       ; 0x39430c8c
	.long	3120142427                      ; 0xb9f9985b
	.long	382092233                       ; 0x16c643c9
	.long	3392407691                      ; 0xca34088b
	.long	472711005                       ; 0x1c2cff5d
	.long	295914899                       ; 0x11a34d93
	.long	4101686983                      ; 0xf47ac6c7
	.long	514297204                       ; 0x1ea78d74
	.long	3370011868                      ; 0xc8de4cdc
	;; [unrolled: 2-line block ×3, first 2 shown]
	.long	3015736706                      ; 0xb3c07d82
	.long	3975975091                      ; 0xecfc90b3
	;; [unrolled: 1-line block ×3, first 2 shown]
	.long	762289386                       ; 0x2d6f9cea
	.long	3618693997                      ; 0xd7b0e36d
	.long	2395097989                      ; 0x8ec24b85
	.long	455322516                       ; 0x1b23ab94
	.long	31168606                        ; 0x1db985e
	.long	3367142977                      ; 0xc8b28641
	.long	2851851305                      ; 0xa9fbcc29
	.long	30511955                        ; 0x1d19353
	.long	3952189603                      ; 0xeb91a0a3
	.long	3298190175                      ; 0xc496635f
	.long	901235185                       ; 0x35b7c1f1
	.long	1564391510                      ; 0x5d3eb856
	.long	2606298633                      ; 0x9b58f609
	.long	826181452                       ; 0x313e874c
	.long	578573310                       ; 0x227c53fe
	.long	3462447127                      ; 0xce60c017
	.long	2482873876                      ; 0x93fda614
	;; [unrolled: 1-line block ×8, first 2 shown]
	.long	877718651                       ; 0x3450ec7b
	.long	3184556473                      ; 0xbdd079b9
	.long	1076378339                      ; 0x40283ae3
	;; [unrolled: 1-line block ×4, first 2 shown]
	.long	299344245                       ; 0x11d7a175
	.long	4014350363                      ; 0xef46201b
	.long	2476927059                      ; 0x93a2e853
	;; [unrolled: 1-line block ×7, first 2 shown]
	.long	451743296                       ; 0x1aed0e40
	.long	889237383                       ; 0x3500af87
	.long	3272848161                      ; 0xc313b321
	.long	3397816882                      ; 0xca869232
	;; [unrolled: 1-line block ×5, first 2 shown]
	.long	834288064                       ; 0x31ba39c0
	.long	2621772886                      ; 0x9c451456
	.long	1804684571                      ; 0x6b914d1b
	;; [unrolled: 1-line block ×4, first 2 shown]
	.long	304865970                       ; 0x122be2b2
	.long	611557097                       ; 0x24739ee9
	.long	3789871366                      ; 0xe1e4d906
	.long	4246691682                      ; 0xfd1f5f62
	;; [unrolled: 1-line block ×11, first 2 shown]
	.long	952637656                       ; 0x38c818d8
	.long	1345432763                      ; 0x5031acbb
	.long	2349212526                      ; 0x8c06236e
	;; [unrolled: 1-line block ×4, first 2 shown]
	.long	563998083                       ; 0x219ded83
	.long	3749011414                      ; 0xdf755fd6
	.long	4028900485                      ; 0xf0242485
	;; [unrolled: 1-line block ×3, first 2 shown]
	.long	654565639                       ; 0x2703e107
	.long	1070907026                      ; 0x3fd4be92
	.long	1072342672                      ; 0x3feaa690
	;; [unrolled: 1-line block ×4, first 2 shown]
	.long	278404469                       ; 0x10981d75
	.long	3899800390                      ; 0xe8723b46
	.long	3566652188                      ; 0xd496cb1c
	;; [unrolled: 1-line block ×5, first 2 shown]
	.long	186674553                       ; 0xb206d79
	.long	4001263143                      ; 0xee7e6e27
	.long	4228837490                      ; 0xfc0ef072
	.long	639885806                       ; 0x2623e1ee
	.long	1495068058                      ; 0x591ced9a
	.long	3033760361                      ; 0xb4d38269
	;; [unrolled: 1-line block ×7, first 2 shown]
	.long	838831089                       ; 0x31ff8bf1
	.long	1815256314                      ; 0x6c329cfa
	.long	1555885880                      ; 0x5cbcef38
	;; [unrolled: 1-line block ×10, first 2 shown]
	.long	751187322                       ; 0x2cc6357a
	.long	2107826711                      ; 0x7da2e217
	.long	1447170583                      ; 0x56421217
	;; [unrolled: 1-line block ×7, first 2 shown]
	.long	685796521                       ; 0x28e06ca9
	.long	3238624475                      ; 0xc1097cdb
	.long	936300677                       ; 0x37ced085
	.long	1986168339                      ; 0x76628613
	;; [unrolled: 2-line block ×3, first 2 shown]
	.long	1642290570                      ; 0x61e35d8a
	.long	1308015359                      ; 0x4df6baff
	;; [unrolled: 1-line block ×4, first 2 shown]
	.long	792571900                       ; 0x2f3daffc
	.long	173318140                       ; 0xa549ffc
	.long	3065349526                      ; 0xb6b58596
	.long	315969823                       ; 0x12d5511f
	.long	1105434360                      ; 0x41e396f8
	.long	1484146625                      ; 0x587647c1
	;; [unrolled: 1-line block ×24, first 2 shown]
	.long	382092233                       ; 0x16c643c9
	.long	3392407691                      ; 0xca34088b
	.long	472711005                       ; 0x1c2cff5d
	.long	1659659070                      ; 0x62ec633e
	.long	4101686983                      ; 0xf47ac6c7
	.long	514297204                       ; 0x1ea78d74
	.long	3370011868                      ; 0xc8de4cdc
	.long	509135340                       ; 0x1e58c9ec
	.long	483888155                       ; 0x1cd78c1b
	.long	3015736706                      ; 0xb3c07d82
	.long	3975975091                      ; 0xecfc90b3
	.long	1324152522                      ; 0x4eecf6ca
	.long	762289386                       ; 0x2d6f9cea
	.long	1259948064                      ; 0x4b194820
	.long	2395097989                      ; 0x8ec24b85
	.long	455322516                       ; 0x1b23ab94
	.long	31168606                        ; 0x1db985e
	.long	3367142977                      ; 0xc8b28641
	.long	339990414                       ; 0x1443d78e
	.long	30511955                        ; 0x1d19353
	.long	3952189603                      ; 0xeb91a0a3
	.long	3298190175                      ; 0xc496635f
	.long	901235185                       ; 0x35b7c1f1
	.long	3097920065                      ; 0xb8a68241
	.long	2606298633                      ; 0x9b58f609
	.long	826181452                       ; 0x313e874c
	.long	578573310                       ; 0x227c53fe
	.long	3462447127                      ; 0xce60c017
	.long	1548039839                      ; 0x5c45369f
	;; [unrolled: 1-line block ×8, first 2 shown]
	.long	877718651                       ; 0x3450ec7b
	.long	3184556473                      ; 0xbdd079b9
	.long	1076378339                      ; 0x40283ae3
	;; [unrolled: 1-line block ×4, first 2 shown]
	.long	299344245                       ; 0x11d7a175
	.long	4014350363                      ; 0xef46201b
	.long	2476927059                      ; 0x93a2e853
	;; [unrolled: 1-line block ×8, first 2 shown]
	.long	889237383                       ; 0x3500af87
	.long	3272848161                      ; 0xc313b321
	.long	3397816882                      ; 0xca869232
	;; [unrolled: 1-line block ×11, first 2 shown]
	.long	768821792                       ; 0x2dd34a20
	.long	2205052576                      ; 0x836e6ea0
	.long	1348983754                      ; 0x5067dbca
	;; [unrolled: 1-line block ×8, first 2 shown]
	.long	741302051                       ; 0x2c2f5f23
	.long	3464753547                      ; 0xce83f18b
	.long	194213376                       ; 0xb937600
	.long	1482799064                      ; 0x5861b7d8
	.long	3009673860                      ; 0xb363fa84
	.long	680824208                       ; 0x28948d90
	.long	741966796                       ; 0x2c3983cc
	.long	2381283369                      ; 0x8def8029
	.long	3022877171                      ; 0xb42d71f3
	;; [unrolled: 1-line block ×14, first 2 shown]
	.long	334328879                       ; 0x13ed742f
	.long	1318235222                      ; 0x4e92ac56
	.long	3140739559                      ; 0xbb33e1e7
	.long	401691770                       ; 0x17f1547a
	.long	3604288404                      ; 0xd6d51394
	.long	3686496908                      ; 0xdbbb7a8c
	.long	770670945                       ; 0x2def8161
	.long	199139043                       ; 0xbde9ee3
	.long	2092710473                      ; 0x7cbc3a49
	.long	3914528993                      ; 0xe952f8e1
	.long	700991333                       ; 0x29c84765
	.long	2375775811                      ; 0x8d9b7643
	.long	858137308                       ; 0x332622dc
	.long	3490050165                      ; 0xd005f075
	.long	2389078291                      ; 0x8e667113
	;; [unrolled: 1-line block ×4, first 2 shown]
	.long	820012549                       ; 0x30e06605
	.long	2085659484                      ; 0x7c50a35c
	.long	2654485136                      ; 0x9e383a90
	;; [unrolled: 1-line block ×3, first 2 shown]
	.long	196481396                       ; 0xbb61174
	.long	1119673274                      ; 0x42bcdbba
	.long	1026209692                      ; 0x3d2ab79c
	.long	726501622                       ; 0x2b4d88f6
	.long	2940737143                      ; 0xaf481677
	.long	3559571163                      ; 0xd42abedb
	;; [unrolled: 1-line block ×4, first 2 shown]
	.long	929664536                       ; 0x37698e18
	.long	1061981465                      ; 0x3f4c8d19
	.long	186058675                       ; 0xb1707b3
	.long	3537656152                      ; 0xd2dc5958
	;; [unrolled: 2-line block ×3, first 2 shown]
	.long	1545798611                      ; 0x5c2303d3
	.long	3031020656                      ; 0xb4a9b470
	;; [unrolled: 1-line block ×8, first 2 shown]
	.long	983632400                       ; 0x3aa10a10
	.long	4188503190                      ; 0xf9a77c96
	.long	757119675                       ; 0x2d20babb
	.long	2105920865                      ; 0x7d85cd61
	.long	4281032819                      ; 0xff2b6073
	;; [unrolled: 1-line block ×6, first 2 shown]
	.long	562313247                       ; 0x2184381f
	.long	3070846353                      ; 0xb7096591
	.long	2564238664                      ; 0x98d72d48
	;; [unrolled: 1-line block ×7, first 2 shown]
	.long	797768898                       ; 0x2f8cfcc2
	.long	2288390225                      ; 0x88661051
	.long	3230323685                      ; 0xc08ad3e5
	;; [unrolled: 1-line block ×4, first 2 shown]
	.long	289857826                       ; 0x1146e122
	.long	3565889868                      ; 0xd48b294c
	.long	2791014422                      ; 0xa65b8016
	;; [unrolled: 1-line block ×8, first 2 shown]
	.long	12563128                        ; 0xbfb2b8
	.long	1397542366                      ; 0x534ccdde
	.long	237149400                       ; 0xe229cd8
	.long	2233707508                      ; 0x8523abf4
	.long	3875573245                      ; 0xe7008dfd
	;; [unrolled: 1-line block ×3, first 2 shown]
	.long	175320773                       ; 0xa732ec5
	.long	4103445984                      ; 0xf4959de0
	.long	4089284323                      ; 0xf3bd86e3
	;; [unrolled: 1-line block ×4, first 2 shown]
	.long	680145366                       ; 0x288a31d6
	.long	2571684685                      ; 0x9948cb4d
	.long	1132894909                      ; 0x43869abd
	.long	104640024                       ; 0x63cae18
	.long	193765521                       ; 0xb8ca091
	.long	2338202907                      ; 0x8b5e251b
	.long	895271448                       ; 0x355cc218
	.long	11499099                        ; 0xaf765b
	.long	1798066417                      ; 0x6b2c50f1
	.long	1297412626                      ; 0x4d54f212
	;; [unrolled: 1-line block ×5, first 2 shown]
	.long	700683199                       ; 0x29c393bf
	.long	2609700278                      ; 0x9b8cddb6
	.long	2953463279                      ; 0xb00a45ef
	;; [unrolled: 1-line block ×7, first 2 shown]
	.long	231283580                       ; 0xdc91b7c
	.long	1375331115                      ; 0x51f9e32b
	.long	207723994                       ; 0xc619dda
	.long	1799562537                      ; 0x6b432529
	.long	2056553564                      ; 0x7a94845c
	;; [unrolled: 1-line block ×6, first 2 shown]
	.long	217877755                       ; 0xcfc8cfb
	.long	2095124912                      ; 0x7ce111b0
	.long	192024370                       ; 0xb720f32
	.long	1168134987                      ; 0x45a0534b
	.long	1889598668                      ; 0x70a0fccc
	;; [unrolled: 1-line block ×7, first 2 shown]
	.long	838034830                       ; 0x31f3658e
	.long	1338018789                      ; 0x4fc08be5
	.long	2595329276                      ; 0x9ab194fc
	.long	3367746385                      ; 0xc8bbbb51
	.long	3197935201                      ; 0xbe9c9e61
	.long	1439351946                      ; 0x55cac48a
	.long	3585085571                      ; 0xd5b01083
	.long	4165798087                      ; 0xf84d08c7
	.long	3634792639                      ; 0xd8a688bf
	.long	2359485974                      ; 0x8ca2e616
	.long	2772582925                      ; 0xa542420d
	.long	1110186203                      ; 0x422c18db
	.long	3771562484                      ; 0xe0cd79f4
	.long	1508694157                      ; 0x59ecd88d
	.long	1564641206                      ; 0x5d4287b6
	.long	2801985736                      ; 0xa702e8c8
	.long	2446107936                      ; 0x91cca520
	.long	3849126897                      ; 0xe56d03f1
	.long	1842973671                      ; 0x6dd98be7
	.long	944408104                       ; 0x384a8628
	.long	2624631280                      ; 0x9c70b1f0
	.long	2729080685                      ; 0xa2aa776d
	;; [unrolled: 1-line block ×3, first 2 shown]
	.long	858809173                       ; 0x33306355
	.long	2289802345                      ; 0x887b9c69
	.long	2428186575                      ; 0x90bb2fcf
	;; [unrolled: 1-line block ×3, first 2 shown]
	.long	716011303                       ; 0x2aad7727
	.long	3443810690                      ; 0xcd446182
	.long	814132610                       ; 0x3086ad82
	.long	517432787                       ; 0x1ed765d3
	;; [unrolled: 1-line block ×3, first 2 shown]
	.long	2930433345                      ; 0xaeaadd41
	.long	291178098                       ; 0x115b0672
	.long	2117644502                      ; 0x7e38b0d6
	.long	2749446703                      ; 0xa3e13a2f
	.long	311745701                       ; 0x1294dca5
	.long	365684723                       ; 0x15cbe7f3
	.long	1705418876                      ; 0x65a6a07c
	.long	2213749318                      ; 0x83f32246
	.long	4011417220                      ; 0xef195e84
	.long	1842575651                      ; 0x6dd37923
	.long	988348831                       ; 0x3ae9019f
	.long	94258998                        ; 0x59e4736
	.long	2771150272                      ; 0xa52c65c0
	.long	498058526                       ; 0x1dafc51e
	.long	1344827813                      ; 0x502871a5
	.long	2961955291                      ; 0xb08bd9db
	.long	262703473                       ; 0xfa88971
	.long	1404034822                      ; 0x53afdf06
	.long	1566595865                      ; 0x5d605b19
	;; [unrolled: 1-line block ×9, first 2 shown]
	.long	619636751                       ; 0x24eee80f
	.long	3746997351                      ; 0xdf56a467
	.long	4103027837                      ; 0xf48f3c7d
	;; [unrolled: 1-line block ×5, first 2 shown]
	.long	107785753                       ; 0x66cae19
	.long	2779092609                      ; 0xa5a59681
	.long	1869691566                      ; 0x6f713aae
	;; [unrolled: 1-line block ×3, first 2 shown]
	.long	903319808                       ; 0x35d79100
	.long	3273374169                      ; 0xc31bb9d9
	.long	2538926990                      ; 0x9754f38e
	.long	979533870                       ; 0x3a62802e
	.long	1356500860                      ; 0x50da8f7c
	.long	1661983738                      ; 0x630fdbfa
	;; [unrolled: 1-line block ×6, first 2 shown]
	.long	517007606                       ; 0x1ed0e8f6
	.long	1421570516                      ; 0x54bb71d4
	.long	2371447300                      ; 0x8d596a04
	;; [unrolled: 1-line block ×5, first 2 shown]
	.long	788770697                       ; 0x2f03af89
	.long	1854750277                      ; 0x6e8d3e45
	.long	209332297                       ; 0xc7a2849
	.long	1137299679                      ; 0x43c9d0df
	;; [unrolled: 2-line block ×3, first 2 shown]
	.long	4179307312                      ; 0xf91b2b30
	.long	2764470693                      ; 0xa4c679a5
	;; [unrolled: 1-line block ×7, first 2 shown]
	.long	701389744                       ; 0x29ce5bb0
	.long	841917592                       ; 0x322ea498
	.long	2065742268                      ; 0x7b20b9bc
	.long	2721848192                      ; 0xa23c1b80
	;; [unrolled: 1-line block ×5, first 2 shown]
	.long	921859028                       ; 0x36f273d4
	.long	4086736376                      ; 0xf396a5f8
	.long	1837462309                      ; 0x6d857325
	;; [unrolled: 1-line block ×4, first 2 shown]
	.long	839037727                       ; 0x3202b31f
	.long	1072086642                      ; 0x3fe6be72
	.long	614518622                       ; 0x24a0cf5e
	.long	3764758228                      ; 0xe065a6d4
	.long	1501128342                      ; 0x59796696
	;; [unrolled: 1-line block ×11, first 2 shown]
	.long	51515980                        ; 0x312124c
	.long	1176526086                      ; 0x46205d06
	.long	3213391582                      ; 0xbf8876de
	;; [unrolled: 1-line block ×4, first 2 shown]
	.long	376085505                       ; 0x166a9c01
	.long	1493749800                      ; 0x5908d028
	.long	3970342143                      ; 0xeca69cff
	;; [unrolled: 1-line block ×6, first 2 shown]
	.long	276747442                       ; 0x107ed4b2
	.long	2776569227                      ; 0xa57f158b
	.long	2992780663                      ; 0xb2623577
	;; [unrolled: 1-line block ×6, first 2 shown]
	.long	661805703                       ; 0x27725a87
	.long	3782305562                      ; 0xe171671a
	.long	9186074                         ; 0x8c2b1a
	.long	2357407210                      ; 0x8c832dea
	.long	2355922343                      ; 0x8c6c85a7
	;; [unrolled: 1-line block ×3, first 2 shown]
	.long	485434612                       ; 0x1cef24f4
	.long	862379913                       ; 0x3366df89
	.long	1029706268                      ; 0x3d60121c
	.long	1512726310                      ; 0x5a2a5f26
	;; [unrolled: 1-line block ×7, first 2 shown]
	.long	711321697                       ; 0x2a65e861
	.long	3465348660                      ; 0xce8d0634
	.long	3623545008                      ; 0xd7fae8b0
	;; [unrolled: 1-line block ×3, first 2 shown]
	.long	838034830                       ; 0x31f3658e
	.long	1553436793                      ; 0x5c979079
	.long	2595329276                      ; 0x9ab194fc
	;; [unrolled: 1-line block ×10, first 2 shown]
	.long	836042976                       ; 0x31d500e0
	.long	3771562484                      ; 0xe0cd79f4
	.long	1508694157                      ; 0x59ecd88d
	;; [unrolled: 1-line block ×7, first 2 shown]
	.long	944408104                       ; 0x384a8628
	.long	2624631280                      ; 0x9c70b1f0
	.long	410746791                       ; 0x187b7fa7
	.long	3737368614                      ; 0xdec3b826
	.long	858809173                       ; 0x33306355
	.long	2289802345                      ; 0x887b9c69
	.long	2428186575                      ; 0x90bb2fcf
	.long	1542325976                      ; 0x5bee06d8
	.long	716011303                       ; 0x2aad7727
	.long	3443810690                      ; 0xcd446182
	.long	814132610                       ; 0x3086ad82
	.long	517432787                       ; 0x1ed765d3
	.long	1649301063                      ; 0x624e5647
	.long	2930433345                      ; 0xaeaadd41
	.long	291178098                       ; 0x115b0672
	.long	2117644502                      ; 0x7e38b0d6
	.long	2749446703                      ; 0xa3e13a2f
	;; [unrolled: 1-line block ×3, first 2 shown]
	.long	365684723                       ; 0x15cbe7f3
	.long	1705418876                      ; 0x65a6a07c
	.long	2213749318                      ; 0x83f32246
	;; [unrolled: 1-line block ×4, first 2 shown]
	.long	988348831                       ; 0x3ae9019f
	.long	94258998                        ; 0x59e4736
	.long	2771150272                      ; 0xa52c65c0
	.long	498058526                       ; 0x1dafc51e
	.long	3314106168                      ; 0xc5893f38
	.long	2961955291                      ; 0xb08bd9db
	.long	262703473                       ; 0xfa88971
	.long	1404034822                      ; 0x53afdf06
	.long	1566595865                      ; 0x5d605b19
	.long	3590367097                      ; 0xd600a779
	.long	1706522206                      ; 0x65b7765e
	.long	1203054806                      ; 0x47b528d6
	.long	1273801539                      ; 0x4becab43
	.long	2070583465                      ; 0x7b6a98a9
	.long	2340683261                      ; 0x8b83fdfd
	.long	3231505231                      ; 0xc09cdb4f
	.long	619636751                       ; 0x24eee80f
	.long	3746997351                      ; 0xdf56a467
	.long	4103027837                      ; 0xf48f3c7d
	;; [unrolled: 1-line block ×5, first 2 shown]
	.long	107785753                       ; 0x66cae19
	.long	2779092609                      ; 0xa5a59681
	.long	1608451840                      ; 0x5fdf0700
	;; [unrolled: 1-line block ×3, first 2 shown]
	.long	903319808                       ; 0x35d79100
	.long	3273374169                      ; 0xc31bb9d9
	.long	2538926990                      ; 0x9754f38e
	.long	645164419                       ; 0x26746d83
	.long	1356500860                      ; 0x50da8f7c
	.long	1661983738                      ; 0x630fdbfa
	;; [unrolled: 1-line block ×6, first 2 shown]
	.long	517007606                       ; 0x1ed0e8f6
	.long	1421570516                      ; 0x54bb71d4
	.long	2371447300                      ; 0x8d596a04
	;; [unrolled: 1-line block ×5, first 2 shown]
	.long	788770697                       ; 0x2f03af89
	.long	1854750277                      ; 0x6e8d3e45
	.long	1345251011                      ; 0x502ee6c3
	;; [unrolled: 1-line block ×3, first 2 shown]
	.long	848527832                       ; 0x329381d8
	.long	3850486924                      ; 0xe581c48c
	.long	4179307312                      ; 0xf91b2b30
	;; [unrolled: 1-line block ×7, first 2 shown]
	.long	183447754                       ; 0xaef30ca
	.long	701389744                       ; 0x29ce5bb0
	;; [unrolled: 1-line block ×3, first 2 shown]
	.long	2065742268                      ; 0x7b20b9bc
	.long	2721848192                      ; 0xa23c1b80
	;; [unrolled: 1-line block ×5, first 2 shown]
	.long	921859028                       ; 0x36f273d4
	.long	4086736376                      ; 0xf396a5f8
	.long	2212730874                      ; 0x83e397fa
	;; [unrolled: 1-line block ×4, first 2 shown]
	.long	839037727                       ; 0x3202b31f
	.long	1072086642                      ; 0x3fe6be72
	.long	55934784                        ; 0x3557f40
	.long	3764758228                      ; 0xe065a6d4
	.long	1501128342                      ; 0x59796696
	;; [unrolled: 1-line block ×4, first 2 shown]
	.long	516550987                       ; 0x1ec9f14b
	.long	3268308948                      ; 0xc2ce6fd4
	.long	3337564231                      ; 0xc6ef3047
	;; [unrolled: 1-line block ×6, first 2 shown]
	.long	51515980                        ; 0x312124c
	.long	1176526086                      ; 0x46205d06
	.long	3213391582                      ; 0xbf8876de
	;; [unrolled: 1-line block ×4, first 2 shown]
	.long	376085505                       ; 0x166a9c01
	.long	1493749800                      ; 0x5908d028
	.long	3970342143                      ; 0xeca69cff
	;; [unrolled: 1-line block ×6, first 2 shown]
	.long	276747442                       ; 0x107ed4b2
	.long	2991976613                      ; 0xb255f0a5
	.long	2992780663                      ; 0xb2623577
	.long	3027279789                      ; 0xb4709fad
	.long	1074555384                      ; 0x400c69f8
	.long	3481518659                      ; 0xcf83c243
	.long	1399789494                      ; 0x536f17b6
	.long	661805703                       ; 0x27725a87
	.long	3782305562                      ; 0xe171671a
	.long	9186074                         ; 0x8c2b1a
	.long	2357407210                      ; 0x8c832dea
	.long	1942736967                      ; 0x73cbd047
	;; [unrolled: 1-line block ×3, first 2 shown]
	.long	485434612                       ; 0x1cef24f4
	.long	862379913                       ; 0x3366df89
	.long	1029706268                      ; 0x3d60121c
	.long	4122704494                      ; 0xf5bb7a6e
	;; [unrolled: 1-line block ×7, first 2 shown]
	.long	711321697                       ; 0x2a65e861
	.long	3465348660                      ; 0xce8d0634
	.long	3623545008                      ; 0xd7fae8b0
	;; [unrolled: 1-line block ×14, first 2 shown]
	.long	836042976                       ; 0x31d500e0
	.long	3771562484                      ; 0xe0cd79f4
	.long	1508694157                      ; 0x59ecd88d
	;; [unrolled: 1-line block ×7, first 2 shown]
	.long	944408104                       ; 0x384a8628
	.long	1854555112                      ; 0x6e8a43e8
	.long	410746791                       ; 0x187b7fa7
	.long	3737368614                      ; 0xdec3b826
	;; [unrolled: 2-line block ×3, first 2 shown]
	.long	3622671731                      ; 0xd7ed9573
	.long	1542325976                      ; 0x5bee06d8
	.long	716011303                       ; 0x2aad7727
	.long	3443810690                      ; 0xcd446182
	.long	814132610                       ; 0x3086ad82
	.long	296197011                       ; 0x11a79b93
	.long	1649301063                      ; 0x624e5647
	.long	2930433345                      ; 0xaeaadd41
	.long	291178098                       ; 0x115b0672
	.long	2117644502                      ; 0x7e38b0d6
	.long	1056271538                      ; 0x3ef56cb2
	;; [unrolled: 1-line block ×3, first 2 shown]
	.long	365684723                       ; 0x15cbe7f3
	.long	1705418876                      ; 0x65a6a07c
	.long	2213749318                      ; 0x83f32246
	;; [unrolled: 1-line block ×4, first 2 shown]
	.long	988348831                       ; 0x3ae9019f
	.long	94258998                        ; 0x59e4736
	.long	2771150272                      ; 0xa52c65c0
	.long	3669902097                      ; 0xdabe4311
	;; [unrolled: 1-line block ×4, first 2 shown]
	.long	262703473                       ; 0xfa88971
	.long	1404034822                      ; 0x53afdf06
	.long	1654433938                      ; 0x629ca892
	;; [unrolled: 1-line block ×9, first 2 shown]
	.long	619636751                       ; 0x24eee80f
	.long	3746997351                      ; 0xdf56a467
	.long	1454088394                      ; 0x56aba0ca
	;; [unrolled: 1-line block ×5, first 2 shown]
	.long	107785753                       ; 0x66cae19
	.long	689323470                       ; 0x29163dce
	.long	1608451840                      ; 0x5fdf0700
	.long	2555219983                      ; 0x984d900f
	.long	903319808                       ; 0x35d79100
	.long	3273374169                      ; 0xc31bb9d9
	.long	1603842392                      ; 0x5f98b158
	;; [unrolled: 3-line block ×3, first 2 shown]
	.long	1380761625                      ; 0x524cc019
	.long	2814639423                      ; 0xa7c3fd3f
	;; [unrolled: 1-line block ×4, first 2 shown]
	.long	517007606                       ; 0x1ed0e8f6
	.long	1421570516                      ; 0x54bb71d4
	.long	1938805701                      ; 0x738fd3c5
	;; [unrolled: 1-line block ×5, first 2 shown]
	.long	788770697                       ; 0x2f03af89
	.long	4238900666                      ; 0xfca87dba
	.long	1345251011                      ; 0x502ee6c3
	;; [unrolled: 1-line block ×3, first 2 shown]
	.long	848527832                       ; 0x329381d8
	.long	3850486924                      ; 0xe581c48c
	.long	108793827                       ; 0x67c0fe3
	.long	3576574608                      ; 0xd52e3290
	.long	1353191605                      ; 0x50a810b5
	;; [unrolled: 1-line block ×5, first 2 shown]
	.long	183447754                       ; 0xaef30ca
	.long	701389744                       ; 0x29ce5bb0
	.long	841917592                       ; 0x322ea498
	.long	2065742268                      ; 0x7b20b9bc
	.long	3036602746                      ; 0xb4fee17a
	;; [unrolled: 1-line block ×5, first 2 shown]
	.long	921859028                       ; 0x36f273d4
	.long	3499985398                      ; 0xd09d89f6
	.long	2212730874                      ; 0x83e397fa
	.long	2579826431                      ; 0x99c506ff
	.long	2436217134                      ; 0x9135b92e
	.long	839037727                       ; 0x3202b31f
	.long	3520354700                      ; 0xd1d4598c
	.long	55934784                        ; 0x3557f40
	.long	3764758228                      ; 0xe065a6d4
	.long	1501128342                      ; 0x59796696
	;; [unrolled: 1-line block ×4, first 2 shown]
	.long	516550987                       ; 0x1ec9f14b
	.long	3268308948                      ; 0xc2ce6fd4
	.long	3337564231                      ; 0xc6ef3047
	;; [unrolled: 1-line block ×6, first 2 shown]
	.long	51515980                        ; 0x312124c
	.long	1176526086                      ; 0x46205d06
	.long	3602010532                      ; 0xd6b251a4
	;; [unrolled: 1-line block ×4, first 2 shown]
	.long	376085505                       ; 0x166a9c01
	.long	1493749800                      ; 0x5908d028
	.long	2922957328                      ; 0xae38ca10
	;; [unrolled: 1-line block ×13, first 2 shown]
	.long	661805703                       ; 0x27725a87
	.long	3782305562                      ; 0xe171671a
	.long	9186074                         ; 0x8c2b1a
	.long	320781315                       ; 0x131ebc03
	.long	1942736967                      ; 0x73cbd047
	.long	2024733363                      ; 0x78aefab3
	.long	485434612                       ; 0x1cef24f4
	.long	862379913                       ; 0x3366df89
	.long	3598892066                      ; 0xd682bc22
	.long	4122704494                      ; 0xf5bb7a6e
	;; [unrolled: 1-line block ×5, first 2 shown]
	.long	545184652                       ; 0x207edb8c
	.long	1210092654                      ; 0x48208c6e
	.long	711321697                       ; 0x2a65e861
	.long	3465348660                      ; 0xce8d0634
	.long	3623545008                      ; 0xd7fae8b0
	;; [unrolled: 1-line block ×14, first 2 shown]
	.long	836042976                       ; 0x31d500e0
	.long	3771562484                      ; 0xe0cd79f4
	.long	1508694157                      ; 0x59ecd88d
	;; [unrolled: 1-line block ×9, first 2 shown]
	.long	410746791                       ; 0x187b7fa7
	.long	3737368614                      ; 0xdec3b826
	.long	858809173                       ; 0x33306355
	.long	525745365                       ; 0x1f563cd5
	.long	3622671731                      ; 0xd7ed9573
	.long	1542325976                      ; 0x5bee06d8
	.long	716011303                       ; 0x2aad7727
	.long	3443810690                      ; 0xcd446182
	.long	566299749                       ; 0x21c10c65
	.long	296197011                       ; 0x11a79b93
	.long	1649301063                      ; 0x624e5647
	.long	2930433345                      ; 0xaeaadd41
	.long	291178098                       ; 0x115b0672
	.long	1987532525                      ; 0x767756ed
	.long	1056271538                      ; 0x3ef56cb2
	;; [unrolled: 1-line block ×3, first 2 shown]
	.long	365684723                       ; 0x15cbe7f3
	.long	1705418876                      ; 0x65a6a07c
	.long	2321222760                      ; 0x8a5b0c68
	;; [unrolled: 1-line block ×4, first 2 shown]
	.long	988348831                       ; 0x3ae9019f
	.long	94258998                        ; 0x59e4736
	.long	2986060366                      ; 0xb1fbaa4e
	.long	3669902097                      ; 0xdabe4311
	;; [unrolled: 1-line block ×4, first 2 shown]
	.long	262703473                       ; 0xfa88971
	.long	604452796                       ; 0x240737bc
	.long	1654433938                      ; 0x629ca892
	.long	3590367097                      ; 0xd600a779
	;; [unrolled: 1-line block ×8, first 2 shown]
	.long	619636751                       ; 0x24eee80f
	.long	6680729                         ; 0x65f099
	.long	1454088394                      ; 0x56aba0ca
	.long	2785398766                      ; 0xa605cfee
	;; [unrolled: 1-line block ×5, first 2 shown]
	.long	689323470                       ; 0x29163dce
	.long	1608451840                      ; 0x5fdf0700
	.long	2555219983                      ; 0x984d900f
	.long	903319808                       ; 0x35d79100
	.long	3430384385                      ; 0xcc778301
	.long	1603842392                      ; 0x5f98b158
	;; [unrolled: 3-line block ×3, first 2 shown]
	.long	2108736152                      ; 0x7db0c298
	.long	2814639423                      ; 0xa7c3fd3f
	;; [unrolled: 1-line block ×4, first 2 shown]
	.long	517007606                       ; 0x1ed0e8f6
	.long	2973658959                      ; 0xb13e6f4f
	.long	1938805701                      ; 0x738fd3c5
	;; [unrolled: 1-line block ×9, first 2 shown]
	.long	848527832                       ; 0x329381d8
	.long	45551112                        ; 0x2b70e08
	.long	108793827                       ; 0x67c0fe3
	.long	3576574608                      ; 0xd52e3290
	.long	1353191605                      ; 0x50a810b5
	;; [unrolled: 1-line block ×5, first 2 shown]
	.long	183447754                       ; 0xaef30ca
	.long	701389744                       ; 0x29ce5bb0
	;; [unrolled: 1-line block ×3, first 2 shown]
	.long	3830639316                      ; 0xe452ead4
	.long	3036602746                      ; 0xb4fee17a
	;; [unrolled: 1-line block ×12, first 2 shown]
	.long	55934784                        ; 0x3557f40
	.long	3764758228                      ; 0xe065a6d4
	.long	1501128342                      ; 0x59796696
	.long	1567864246                      ; 0x5d73b5b6
	.long	1601010847                      ; 0x5f6d7c9f
	.long	516550987                       ; 0x1ec9f14b
	.long	3268308948                      ; 0xc2ce6fd4
	.long	3337564231                      ; 0xc6ef3047
	;; [unrolled: 1-line block ×6, first 2 shown]
	.long	51515980                        ; 0x312124c
	.long	3551394489                      ; 0xd3adfab9
	.long	3602010532                      ; 0xd6b251a4
	;; [unrolled: 1-line block ×4, first 2 shown]
	.long	376085505                       ; 0x166a9c01
	.long	885459498                       ; 0x34c70a2a
	.long	2922957328                      ; 0xae38ca10
	.long	3190791788                      ; 0xbe2f9e6c
	.long	2165301314                      ; 0x810fe042
	.long	2332030190                      ; 0x8afff4ee
	.long	3197056515                      ; 0xbe8f3603
	.long	1649666443                      ; 0x6253e98b
	.long	2991976613                      ; 0xb255f0a5
	.long	2992780663                      ; 0xb2623577
	.long	3027279789                      ; 0xb4709fad
	.long	2385348906                      ; 0x8e2d892a
	.long	2848531519                      ; 0xa9c9243f
	.long	1399789494                      ; 0x536f17b6
	.long	661805703                       ; 0x27725a87
	.long	3782305562                      ; 0xe171671a
	.long	2163075465                      ; 0x80ede989
	.long	320781315                       ; 0x131ebc03
	.long	1942736967                      ; 0x73cbd047
	.long	2024733363                      ; 0x78aefab3
	;; [unrolled: 3-line block ×3, first 2 shown]
	.long	4122704494                      ; 0xf5bb7a6e
	.long	3834948354                      ; 0xe494ab02
	;; [unrolled: 1-line block ×6, first 2 shown]
	.long	673530532                       ; 0x282542a4
	.long	493730767                       ; 0x1d6dbbcf
	.long	1124557747                      ; 0x430763b3
	.long	1908629439                      ; 0x71c35fbf
	;; [unrolled: 1-line block ×15, first 2 shown]
	.long	364370737                       ; 0x15b7db31
	.long	1893001758                      ; 0x70d4ea1e
	.long	2608875275                      ; 0x9b80470b
	;; [unrolled: 1-line block ×5, first 2 shown]
	.long	348872225                       ; 0x14cb5e21
	.long	2470564216                      ; 0x9341d178
	.long	1417878284                      ; 0x54831b0c
	;; [unrolled: 1-line block ×7, first 2 shown]
	.long	391544737                       ; 0x17567fa1
	.long	2056567354                      ; 0x7a94ba3a
	.long	737657378                       ; 0x2bf7c222
	.long	3877904725                      ; 0xe7242155
	;; [unrolled: 2-line block ×3, first 2 shown]
	.long	3383278785                      ; 0xc9a8bcc1
	.long	1047197514                      ; 0x3e6af74a
	.long	649468151                       ; 0x26b618f7
	.long	3452867243                      ; 0xcdce92ab
	.long	1792089520                      ; 0x6ad11db0
	.long	63936215                        ; 0x3cf96d7
	.long	3909143729                      ; 0xe900ccb1
	.long	3753489875                      ; 0xdfb9b5d3
	.long	734314122                       ; 0x2bc4be8a
	.long	2490530916                      ; 0x94727c64
	.long	3043874586                      ; 0xb56dd71a
	;; [unrolled: 1-line block ×3, first 2 shown]
	.long	59001199                        ; 0x384496f
	.long	2493748676                      ; 0x94a395c4
	.long	2552438622                      ; 0x98231f5e
	;; [unrolled: 1-line block ×6, first 2 shown]
	.long	816106718                       ; 0x30a4ccde
	.long	2176130406                      ; 0x81b51d66
	.long	640254735                       ; 0x2629830f
	.long	12376903                        ; 0xbcdb47
	.long	3000264936                      ; 0xb2d468e8
	.long	3304116079                      ; 0xc4f0cf6f
	;; [unrolled: 1-line block ×11, first 2 shown]
	.long	633510901                       ; 0x25c29bf5
	.long	2312190757                      ; 0x89d13b25
	.long	402878244                       ; 0x18036f24
	.long	2501565021                      ; 0x951ada5d
	.long	2984409334                      ; 0xb1e278f6
	;; [unrolled: 1-line block ×5, first 2 shown]
	.long	971722322                       ; 0x39eb4e52
	.long	3065543880                      ; 0xb6b87cc8
	.long	2307584190                      ; 0x898af0be
	.long	491480322                       ; 0x1d4b6502
	.long	2068673112                      ; 0x7b4d7258
	.long	1929780632                      ; 0x73061d98
	.long	178549964                       ; 0xaa474cc
	.long	983979983                       ; 0x3aa657cf
	.long	2769314886                      ; 0xa5106446
	.long	4214442042                      ; 0xfb33483a
	;; [unrolled: 1-line block ×3, first 2 shown]
	.long	25450683                        ; 0x18458bb
	.long	3075212658                      ; 0xb74c0572
	.long	1571149568                      ; 0x5da5d700
	;; [unrolled: 1-line block ×3, first 2 shown]
	.long	42782504                        ; 0x28ccf28
	.long	425601306                       ; 0x195e291a
	.long	428715214                       ; 0x198dacce
	;; [unrolled: 1-line block ×5, first 2 shown]
	.long	1786382125                      ; 0x6a7a072d
	.long	2712003995                      ; 0xa1a5e59b
	.long	3610802197                      ; 0xd7387815
	.long	2076490757                      ; 0x7bc4bc05
	.long	404822980                       ; 0x18211bc4
	.long	3953184772                      ; 0xeba0d004
	.long	1655231947                      ; 0x62a8d5cb
	;; [unrolled: 1-line block ×16, first 2 shown]
	.long	120332643                       ; 0x72c2163
	.long	1219374788                      ; 0x48ae2ec4
	.long	3608889019                      ; 0xd71b46bb
	;; [unrolled: 1-line block ×3, first 2 shown]
	.long	858495304                       ; 0x332b9948
	.long	1284785543                      ; 0x4c944587
	.long	331370962                       ; 0x13c051d2
	.long	2259419662                      ; 0x86ac020e
	.long	2519864134                      ; 0x96321346
	;; [unrolled: 1-line block ×7, first 2 shown]
	.long	265068954                       ; 0xfcca19a
	.long	1464416963                      ; 0x57493ac3
	.long	1232787612                      ; 0x497ad89c
	;; [unrolled: 1-line block ×4, first 2 shown]
	.long	670300081                       ; 0x27f3f7b1
	.long	2509357766                      ; 0x9591c2c6
	.long	1981891975                      ; 0x76214587
	;; [unrolled: 1-line block ×4, first 2 shown]
	.long	44760868                        ; 0x2aaff24
	.long	634955171                       ; 0x25d8a5a3
	.long	1187096933                      ; 0x46c1a965
	.long	3324788972                      ; 0xc62c40ec
	.long	3576888559                      ; 0xd532fcef
	.long	2801347752                      ; 0xa6f92ca8
	.long	3730298395                      ; 0xde57d61b
	.long	1702170762                      ; 0x6575108a
	.long	4206083415                      ; 0xfab3bd57
	.long	741409141                       ; 0x2c310175
	.long	3649731355                      ; 0xd98a7b1b
	.long	1025429529                      ; 0x3d1ed019
	.long	91444490                        ; 0x573550a
	.long	628576944                       ; 0x257752b0
	.long	4069219862                      ; 0xf28b5e16
	.long	2253058925                      ; 0x864af36d
	.long	492354082                       ; 0x1d58ba22
	.long	1191182242                      ; 0x46ffffa2
	.long	1565180119                      ; 0x5d4ac0d7
	;; [unrolled: 1-line block ×3, first 2 shown]
	.long	456055162                       ; 0x1b2ed97a
	.long	605712223                       ; 0x241a6f5f
	;; [unrolled: 1-line block ×3, first 2 shown]
	.long	3104638527                      ; 0xb90d063f
	.long	1133984729                      ; 0x43973bd9
	;; [unrolled: 1-line block ×5, first 2 shown]
	.long	843719355                       ; 0x324a22bb
	.long	588432962                       ; 0x2312c642
	.long	1734575434                      ; 0x6763854a
	.long	2924140067                      ; 0xae4ad623
	.long	483396548                       ; 0x1cd00bc4
	.long	3848838894                      ; 0xe5689eee
	.long	3155476556                      ; 0xbc14c04c
	.long	1760928304                      ; 0x68f5a230
	.long	4168059840                      ; 0xf86f8bc0
	.long	3279827269                      ; 0xc37e3145
	.long	2644461735                      ; 0x9d9f48a7
	.long	4168565656                      ; 0xf8774398
	.long	3951563569                      ; 0xeb881331
	.long	1276805504                      ; 0x4c1a8180
	.long	1708974143                      ; 0x65dce03f
	.long	1878547888                      ; 0x6ff85db0
	.long	3465220024                      ; 0xce8b0fb8
	.long	3062086782                      ; 0xb683bc7e
	.long	2801401651                      ; 0xa6f9ff33
	.long	1510428126                      ; 0x5a074dde
	.long	716404149                       ; 0x2ab375b5
	.long	1646021208                      ; 0x621c4a58
	.long	3534932385                      ; 0xd2b2c9a1
	;; [unrolled: 1-line block ×3, first 2 shown]
	.long	651997355                       ; 0x26dcb0ab
	.long	282914223                       ; 0x10dcedaf
	;; [unrolled: 1-line block ×3, first 2 shown]
	.long	3764407517                      ; 0xe0604cdd
	.long	1059868753                      ; 0x3f2c5051
	;; [unrolled: 1-line block ×3, first 2 shown]
	.long	978904005                       ; 0x3a58e3c5
	.long	976413661                       ; 0x3a32e3dd
	.long	4039544152                      ; 0xf0c68d58
	.long	498989693                       ; 0x1dbdfa7d
	.long	2565125471                      ; 0x98e4b55f
	.long	2782642813                      ; 0xa5dbc27d
	;; [unrolled: 1-line block ×4, first 2 shown]
	.long	169217024                       ; 0xa160c00
	.long	3491609                         ; 0x354719
	.long	1319592872                      ; 0x4ea763a8
	.long	1630206561                      ; 0x612afa61
	.long	2497130840                      ; 0x94d73158
	.long	1685008996                      ; 0x646f3264
	.long	2828944016                      ; 0xa89e4290
	.long	3301346775                      ; 0xc4c68dd7
	.long	2893072371                      ; 0xac70c7f3
	.long	2606559798                      ; 0x9b5cf236
	.long	4026138031                      ; 0xeff9fdaf
	.long	2664450619                      ; 0x9ed04a3b
	.long	691091062                       ; 0x29313676
	.long	1079640113                      ; 0x405a0031
	.long	1417637732                      ; 0x547f6f64
	;; [unrolled: 1-line block ×6, first 2 shown]
	.long	959936499                       ; 0x393777f3
	.long	2844551811                      ; 0xa98c6a83
	.long	2272766890                      ; 0x8777abaa
	.long	31122394                        ; 0x1dae3da
	.long	2742925483                      ; 0xa37db8ab
	.long	1121884686                      ; 0x42de9a0e
	.long	57929089                        ; 0x373ed81
	.long	2468361281                      ; 0x93203441
	.long	2982007782                      ; 0xb1bdd3e6
	;; [unrolled: 1-line block ×3, first 2 shown]
	.long	177782593                       ; 0xa98bf41
	.long	3603584577                      ; 0xd6ca5641
	.long	672057044                       ; 0x280ec6d4
	.long	2108452841                      ; 0x7dac6fe9
	.long	1671338057                      ; 0x639e9849
	;; [unrolled: 1-line block ×4, first 2 shown]
	.long	805157552                       ; 0x2ffdbab0
	.long	1271858417                      ; 0x4bcf04f1
	.long	1621249501                      ; 0x60a24ddd
	;; [unrolled: 1-line block ×4, first 2 shown]
	.long	751773221                       ; 0x2ccf2625
	.long	1517221627                      ; 0x5a6ef6fb
	.long	822709871                       ; 0x31098e6f
	.long	104533154                       ; 0x63b0ca2
	.long	3578182264                      ; 0xd546ba78
	.long	640541709                       ; 0x262de40d
	.long	421086624                       ; 0x191945a0
	.long	4233576392                      ; 0xfc573fc8
	.long	3729339369                      ; 0xde4933e9
	.long	197460644                       ; 0xbc502a4
	.long	773140636                       ; 0x2e15309c
	.long	2158026018                      ; 0x80a0dd22
	.long	1756785611                      ; 0x68b66bcb
	;; [unrolled: 1-line block ×4, first 2 shown]
	.long	736117181                       ; 0x2be041bd
	.long	2456162322                      ; 0x92661012
	.long	1168189787                      ; 0x45a1295b
	;; [unrolled: 1-line block ×4, first 2 shown]
	.long	268231205                       ; 0xffce225
	.long	541474497                       ; 0x20463ec1
	.long	3316168972                      ; 0xc5a8b90c
	.long	3546990856                      ; 0xd36ac908
	.long	830417208                       ; 0x317f2938
	.long	725960194                       ; 0x2b454602
	.long	2044207227                      ; 0x79d8207b
	.long	3188997938                      ; 0xbe143f32
	;; [unrolled: 1-line block ×7, first 2 shown]
	.long	749371711                       ; 0x2caa813f
	.long	766611716                       ; 0x2db19104
	.long	598195098                       ; 0x23a7bb9a
	.long	2139882719                      ; 0x7f8c04df
	.long	2062405428                      ; 0x7aedcf34
	.long	3634702446                      ; 0xd8a5286e
	.long	3015263295                      ; 0xb3b9443f
	.long	223311969                       ; 0xd4f7861
	.long	2622859522                      ; 0x9c55a902
	.long	3888492701                      ; 0xe7c5b09d
	;; [unrolled: 1-line block ×3, first 2 shown]
	.long	582625650                       ; 0x22ba2972
	.long	3563756446                      ; 0xd46a9b9e
	.long	2886083960                      ; 0xac062578
	;; [unrolled: 1-line block ×3, first 2 shown]
	.long	454650902                       ; 0x1b196c16
	.long	3287277541                      ; 0xc3efdfe5
	.long	625828138                       ; 0x254d612a
	.long	2991888140                      ; 0xb254970c
	.long	1935326370                      ; 0x735abca2
	;; [unrolled: 1-line block ×3, first 2 shown]
	.long	702881509                       ; 0x29e51ee5
	.long	1427632724                      ; 0x5517f254
	.long	1345475301                      ; 0x503252e5
	.long	2577560804                      ; 0x99a274e4
	.long	2858595147                      ; 0xaa62b34b
	.long	2533191188                      ; 0x96fd6e14
	.long	185662179                       ; 0xb10fae3
	.long	536505093                       ; 0x1ffa6b05
	.long	3747894147                      ; 0xdf645383
	.long	111551030                       ; 0x6a62236
	.long	370373207                       ; 0x16137257
	.long	2293908590                      ; 0x88ba446e
	.long	91444490                        ; 0x573550a
	.long	628576944                       ; 0x257752b0
	.long	4069219862                      ; 0xf28b5e16
	.long	2253058925                      ; 0x864af36d
	;; [unrolled: 1-line block ×6, first 2 shown]
	.long	456055162                       ; 0x1b2ed97a
	.long	3411094744                      ; 0xcb512cd8
	.long	953365104                       ; 0x38d33270
	.long	3104638527                      ; 0xb90d063f
	.long	1133984729                      ; 0x43973bd9
	;; [unrolled: 1-line block ×5, first 2 shown]
	.long	843719355                       ; 0x324a22bb
	.long	588432962                       ; 0x2312c642
	.long	1734575434                      ; 0x6763854a
	.long	3293926122                      ; 0xc45552ea
	.long	483396548                       ; 0x1cd00bc4
	.long	3848838894                      ; 0xe5689eee
	.long	3155476556                      ; 0xbc14c04c
	;; [unrolled: 1-line block ×3, first 2 shown]
	.long	146876953                       ; 0x8c12a19
	.long	3279827269                      ; 0xc37e3145
	.long	2644461735                      ; 0x9d9f48a7
	;; [unrolled: 1-line block ×11, first 2 shown]
	.long	716404149                       ; 0x2ab375b5
	.long	1646021208                      ; 0x621c4a58
	.long	3534932385                      ; 0xd2b2c9a1
	;; [unrolled: 1-line block ×3, first 2 shown]
	.long	651997355                       ; 0x26dcb0ab
	.long	282914223                       ; 0x10dcedaf
	;; [unrolled: 1-line block ×3, first 2 shown]
	.long	3764407517                      ; 0xe0604cdd
	.long	1275979651                      ; 0x4c0de783
	;; [unrolled: 1-line block ×3, first 2 shown]
	.long	978904005                       ; 0x3a58e3c5
	.long	976413661                       ; 0x3a32e3dd
	.long	4039544152                      ; 0xf0c68d58
	.long	300654823                       ; 0x11eba0e7
	.long	2565125471                      ; 0x98e4b55f
	.long	2782642813                      ; 0xa5dbc27d
	;; [unrolled: 1-line block ×5, first 2 shown]
	.long	3491609                         ; 0x354719
	.long	1319592872                      ; 0x4ea763a8
	.long	1630206561                      ; 0x612afa61
	;; [unrolled: 1-line block ×10, first 2 shown]
	.long	691091062                       ; 0x29313676
	.long	1079640113                      ; 0x405a0031
	.long	1417637732                      ; 0x547f6f64
	.long	17137237                        ; 0x1057e55
	.long	2197910648                      ; 0x83017478
	.long	2310382370                      ; 0x89b5a322
	;; [unrolled: 1-line block ×3, first 2 shown]
	.long	959936499                       ; 0x393777f3
	.long	802137134                       ; 0x2fcfa42e
	.long	2272766890                      ; 0x8777abaa
	.long	31122394                        ; 0x1dae3da
	.long	2742925483                      ; 0xa37db8ab
	.long	1121884686                      ; 0x42de9a0e
	;; [unrolled: 1-line block ×6, first 2 shown]
	.long	177782593                       ; 0xa98bf41
	.long	3319492525                      ; 0xc5db6fad
	.long	672057044                       ; 0x280ec6d4
	.long	2108452841                      ; 0x7dac6fe9
	.long	1671338057                      ; 0x639e9849
	;; [unrolled: 1-line block ×4, first 2 shown]
	.long	805157552                       ; 0x2ffdbab0
	.long	1271858417                      ; 0x4bcf04f1
	.long	1621249501                      ; 0x60a24ddd
	;; [unrolled: 1-line block ×4, first 2 shown]
	.long	751773221                       ; 0x2ccf2625
	.long	1517221627                      ; 0x5a6ef6fb
	.long	822709871                       ; 0x31098e6f
	.long	104533154                       ; 0x63b0ca2
	;; [unrolled: 1-line block ×5, first 2 shown]
	.long	4233576392                      ; 0xfc573fc8
	.long	3729339369                      ; 0xde4933e9
	;; [unrolled: 1-line block ×3, first 2 shown]
	.long	773140636                       ; 0x2e15309c
	.long	2158026018                      ; 0x80a0dd22
	.long	1756785611                      ; 0x68b66bcb
	;; [unrolled: 1-line block ×3, first 2 shown]
	.long	587202971                       ; 0x2300019b
	.long	736117181                       ; 0x2be041bd
	.long	2456162322                      ; 0x92661012
	.long	1168189787                      ; 0x45a1295b
	;; [unrolled: 1-line block ×4, first 2 shown]
	.long	268231205                       ; 0xffce225
	.long	541474497                       ; 0x20463ec1
	.long	3316168972                      ; 0xc5a8b90c
	.long	3546990856                      ; 0xd36ac908
	;; [unrolled: 1-line block ×3, first 2 shown]
	.long	725960194                       ; 0x2b454602
	.long	2044207227                      ; 0x79d8207b
	.long	3188997938                      ; 0xbe143f32
	;; [unrolled: 1-line block ×7, first 2 shown]
	.long	749371711                       ; 0x2caa813f
	.long	2163964019                      ; 0x80fb7873
	.long	598195098                       ; 0x23a7bb9a
	.long	2139882719                      ; 0x7f8c04df
	.long	2062405428                      ; 0x7aedcf34
	;; [unrolled: 1-line block ×4, first 2 shown]
	.long	223311969                       ; 0xd4f7861
	.long	2622859522                      ; 0x9c55a902
	.long	3888492701                      ; 0xe7c5b09d
	;; [unrolled: 1-line block ×3, first 2 shown]
	.long	740986174                       ; 0x2c2a8d3e
	.long	3563756446                      ; 0xd46a9b9e
	.long	2886083960                      ; 0xac062578
	;; [unrolled: 1-line block ×3, first 2 shown]
	.long	454650902                       ; 0x1b196c16
	.long	2426323587                      ; 0x909ec283
	.long	625828138                       ; 0x254d612a
	.long	2991888140                      ; 0xb254970c
	.long	1935326370                      ; 0x735abca2
	;; [unrolled: 1-line block ×9, first 2 shown]
	.long	185662179                       ; 0xb10fae3
	.long	536505093                       ; 0x1ffa6b05
	.long	3747894147                      ; 0xdf645383
	.long	111551030                       ; 0x6a62236
	.long	4131587422                      ; 0xf643055e
	.long	2293908590                      ; 0x88ba446e
	.long	91444490                        ; 0x573550a
	.long	628576944                       ; 0x257752b0
	.long	4069219862                      ; 0xf28b5e16
	.long	2408189350                      ; 0x8f8a0da6
	;; [unrolled: 1-line block ×8, first 2 shown]
	.long	953365104                       ; 0x38d33270
	.long	3104638527                      ; 0xb90d063f
	.long	1133984729                      ; 0x43973bd9
	.long	631497759                       ; 0x25a3e41f
	.long	2000630022                      ; 0x773f3106
	.long	1921384447                      ; 0x7285ffff
	.long	843719355                       ; 0x324a22bb
	.long	588432962                       ; 0x2312c642
	.long	3280318959                      ; 0xc385b1ef
	.long	3293926122                      ; 0xc45552ea
	.long	483396548                       ; 0x1cd00bc4
	.long	3848838894                      ; 0xe5689eee
	.long	3155476556                      ; 0xbc14c04c
	.long	1777918163                      ; 0x69f8e0d3
	.long	146876953                       ; 0x8c12a19
	.long	3279827269                      ; 0xc37e3145
	.long	2644461735                      ; 0x9d9f48a7
	;; [unrolled: 1-line block ×11, first 2 shown]
	.long	716404149                       ; 0x2ab375b5
	.long	1646021208                      ; 0x621c4a58
	.long	3102243824                      ; 0xb8e87bf0
	;; [unrolled: 1-line block ×3, first 2 shown]
	.long	651997355                       ; 0x26dcb0ab
	.long	282914223                       ; 0x10dcedaf
	;; [unrolled: 1-line block ×3, first 2 shown]
	.long	3767702588                      ; 0xe092943c
	.long	1275979651                      ; 0x4c0de783
	;; [unrolled: 1-line block ×3, first 2 shown]
	.long	978904005                       ; 0x3a58e3c5
	.long	976413661                       ; 0x3a32e3dd
	.long	1951622548                      ; 0x74536594
	.long	300654823                       ; 0x11eba0e7
	.long	2565125471                      ; 0x98e4b55f
	.long	2782642813                      ; 0xa5dbc27d
	;; [unrolled: 1-line block ×5, first 2 shown]
	.long	3491609                         ; 0x354719
	.long	1319592872                      ; 0x4ea763a8
	.long	1630206561                      ; 0x612afa61
	;; [unrolled: 1-line block ×7, first 2 shown]
	.long	207992406                       ; 0xc65b656
	.long	2153172585                      ; 0x8056ce69
	.long	2664450619                      ; 0x9ed04a3b
	.long	691091062                       ; 0x29313676
	.long	1079640113                      ; 0x405a0031
	.long	3114255216                      ; 0xb99fc370
	.long	17137237                        ; 0x1057e55
	.long	2197910648                      ; 0x83017478
	.long	2310382370                      ; 0x89b5a322
	;; [unrolled: 1-line block ×4, first 2 shown]
	.long	802137134                       ; 0x2fcfa42e
	.long	2272766890                      ; 0x8777abaa
	.long	31122394                        ; 0x1dae3da
	.long	2742925483                      ; 0xa37db8ab
	.long	4069482373                      ; 0xf28f5f85
	;; [unrolled: 1-line block ×8, first 2 shown]
	.long	672057044                       ; 0x280ec6d4
	.long	2108452841                      ; 0x7dac6fe9
	.long	1671338057                      ; 0x639e9849
	.long	12831353                        ; 0xc3ca79
	.long	1878151473                      ; 0x6ff25131
	.long	805157552                       ; 0x2ffdbab0
	.long	1271858417                      ; 0x4bcf04f1
	.long	1621249501                      ; 0x60a24ddd
	.long	461887094                       ; 0x1b87d676
	.long	3215921223                      ; 0xbfaf1047
	.long	751773221                       ; 0x2ccf2625
	;; [unrolled: 2-line block ×4, first 2 shown]
	.long	640541709                       ; 0x262de40d
	.long	421086624                       ; 0x191945a0
	.long	4233576392                      ; 0xfc573fc8
	.long	3385587450                      ; 0xc9cbf6fa
	;; [unrolled: 1-line block ×3, first 2 shown]
	.long	773140636                       ; 0x2e15309c
	.long	2158026018                      ; 0x80a0dd22
	.long	1756785611                      ; 0x68b66bcb
	;; [unrolled: 1-line block ×3, first 2 shown]
	.long	587202971                       ; 0x2300019b
	.long	736117181                       ; 0x2be041bd
	.long	2456162322                      ; 0x92661012
	.long	1168189787                      ; 0x45a1295b
	.long	911455077                       ; 0x3653b365
	.long	2517883370                      ; 0x9613d9ea
	.long	268231205                       ; 0xffce225
	.long	541474497                       ; 0x20463ec1
	.long	3316168972                      ; 0xc5a8b90c
	.long	1500275507                      ; 0x596c6333
	;; [unrolled: 1-line block ×3, first 2 shown]
	.long	725960194                       ; 0x2b454602
	.long	2044207227                      ; 0x79d8207b
	.long	3188997938                      ; 0xbe143f32
	;; [unrolled: 1-line block ×7, first 2 shown]
	.long	87868216                        ; 0x53cc338
	.long	2163964019                      ; 0x80fb7873
	.long	598195098                       ; 0x23a7bb9a
	.long	2139882719                      ; 0x7f8c04df
	.long	2062405428                      ; 0x7aedcf34
	.long	517907301                       ; 0x1edea365
	.long	2788202059                      ; 0xa630964b
	.long	223311969                       ; 0xd4f7861
	.long	2622859522                      ; 0x9c55a902
	.long	3888492701                      ; 0xe7c5b09d
	;; [unrolled: 1-line block ×3, first 2 shown]
	.long	740986174                       ; 0x2c2a8d3e
	.long	3563756446                      ; 0xd46a9b9e
	.long	2886083960                      ; 0xac062578
	;; [unrolled: 1-line block ×5, first 2 shown]
	.long	625828138                       ; 0x254d612a
	.long	2991888140                      ; 0xb254970c
	.long	1935326370                      ; 0x735abca2
	;; [unrolled: 1-line block ×9, first 2 shown]
	.long	185662179                       ; 0xb10fae3
	.long	536505093                       ; 0x1ffa6b05
	.long	3747894147                      ; 0xdf645383
	.long	1711714600                      ; 0x6606b128
	.long	4131587422                      ; 0xf643055e
	.long	2293908590                      ; 0x88ba446e
	.long	91444490                        ; 0x573550a
	.long	628576944                       ; 0x257752b0
	.long	3370678255                      ; 0xc8e877ef
	.long	2408189350                      ; 0x8f8a0da6
	;; [unrolled: 1-line block ×8, first 2 shown]
	.long	953365104                       ; 0x38d33270
	.long	3104638527                      ; 0xb90d063f
	.long	3659647225                      ; 0xda21c8f9
	.long	631497759                       ; 0x25a3e41f
	.long	2000630022                      ; 0x773f3106
	.long	1921384447                      ; 0x7285ffff
	;; [unrolled: 3-line block ×3, first 2 shown]
	.long	3293926122                      ; 0xc45552ea
	.long	483396548                       ; 0x1cd00bc4
	.long	3848838894                      ; 0xe5689eee
	.long	3131266478                      ; 0xbaa355ae
	;; [unrolled: 1-line block ×3, first 2 shown]
	.long	146876953                       ; 0x8c12a19
	.long	3279827269                      ; 0xc37e3145
	.long	2644461735                      ; 0x9d9f48a7
	;; [unrolled: 1-line block ×11, first 2 shown]
	.long	716404149                       ; 0x2ab375b5
	.long	3392113666                      ; 0xca2f8c02
	.long	3102243824                      ; 0xb8e87bf0
	;; [unrolled: 1-line block ×3, first 2 shown]
	.long	651997355                       ; 0x26dcb0ab
	.long	282914223                       ; 0x10dcedaf
	.long	2085613514                      ; 0x7c4fefca
	.long	3767702588                      ; 0xe092943c
	;; [unrolled: 1-line block ×4, first 2 shown]
	.long	978904005                       ; 0x3a58e3c5
	.long	503506384                       ; 0x1e02e5d0
	.long	1951622548                      ; 0x74536594
	.long	300654823                       ; 0x11eba0e7
	.long	2565125471                      ; 0x98e4b55f
	.long	2782642813                      ; 0xa5dbc27d
	;; [unrolled: 1-line block ×5, first 2 shown]
	.long	3491609                         ; 0x354719
	.long	1319592872                      ; 0x4ea763a8
	.long	452433679                       ; 0x1af7970f
	.long	1075424534                      ; 0x4019ad16
	.long	1437913158                      ; 0x55b4d046
	;; [unrolled: 1-line block ×5, first 2 shown]
	.long	207992406                       ; 0xc65b656
	.long	2153172585                      ; 0x8056ce69
	.long	2664450619                      ; 0x9ed04a3b
	.long	691091062                       ; 0x29313676
	.long	3553502652                      ; 0xd3ce25bc
	.long	3114255216                      ; 0xb99fc370
	.long	17137237                        ; 0x1057e55
	.long	2197910648                      ; 0x83017478
	.long	2310382370                      ; 0x89b5a322
	;; [unrolled: 1-line block ×4, first 2 shown]
	.long	802137134                       ; 0x2fcfa42e
	.long	2272766890                      ; 0x8777abaa
	.long	31122394                        ; 0x1dae3da
	.long	468580641                       ; 0x1bedf921
	.long	4069482373                      ; 0xf28f5f85
	.long	3909775167                      ; 0xe90a6f3f
	;; [unrolled: 1-line block ×7, first 2 shown]
	.long	672057044                       ; 0x280ec6d4
	.long	2108452841                      ; 0x7dac6fe9
	.long	1755577669                      ; 0x68a3fd45
	.long	12831353                        ; 0xc3ca79
	.long	1878151473                      ; 0x6ff25131
	.long	805157552                       ; 0x2ffdbab0
	.long	1271858417                      ; 0x4bcf04f1
	.long	2623540912                      ; 0x9c600eb0
	.long	461887094                       ; 0x1b87d676
	.long	3215921223                      ; 0xbfaf1047
	.long	751773221                       ; 0x2ccf2625
	.long	1517221627                      ; 0x5a6ef6fb
	.long	3922191946                      ; 0xe9c7e64a
	.long	1317394918                      ; 0x4e85d9e6
	.long	361845001                       ; 0x15915109
	.long	640541709                       ; 0x262de40d
	;; [unrolled: 1-line block ×3, first 2 shown]
	.long	2173849516                      ; 0x81924fac
	.long	3385587450                      ; 0xc9cbf6fa
	;; [unrolled: 1-line block ×3, first 2 shown]
	.long	773140636                       ; 0x2e15309c
	.long	2158026018                      ; 0x80a0dd22
	.long	1085377158                      ; 0x40b18a86
	;; [unrolled: 1-line block ×3, first 2 shown]
	.long	587202971                       ; 0x2300019b
	.long	736117181                       ; 0x2be041bd
	.long	2456162322                      ; 0x92661012
	.long	2158960374                      ; 0x80af1ef6
	.long	911455077                       ; 0x3653b365
	.long	2517883370                      ; 0x9613d9ea
	.long	268231205                       ; 0xffce225
	.long	541474497                       ; 0x20463ec1
	;; [unrolled: 1-line block ×3, first 2 shown]
	.long	1500275507                      ; 0x596c6333
	.long	2037251305                      ; 0x796dfce9
	.long	725960194                       ; 0x2b454602
	.long	2044207227                      ; 0x79d8207b
	.long	2481150802                      ; 0x93e35b52
	;; [unrolled: 1-line block ×7, first 2 shown]
	.long	87868216                        ; 0x53cc338
	.long	2163964019                      ; 0x80fb7873
	.long	598195098                       ; 0x23a7bb9a
	.long	2139882719                      ; 0x7f8c04df
	.long	2007840238                      ; 0x77ad35ee
	.long	517907301                       ; 0x1edea365
	.long	2788202059                      ; 0xa630964b
	.long	223311969                       ; 0xd4f7861
	;; [unrolled: 2-line block ×4, first 2 shown]
	.long	3563756446                      ; 0xd46a9b9e
	.long	2886083960                      ; 0xac062578
	;; [unrolled: 1-line block ×5, first 2 shown]
	.long	625828138                       ; 0x254d612a
	.long	2991888140                      ; 0xb254970c
	.long	2652286195                      ; 0x9e16acf3
	;; [unrolled: 1-line block ×6, first 2 shown]
	.long	289801789                       ; 0x1146063d
	.long	3509674153                      ; 0xd13160a9
	.long	3977153945                      ; 0xed0e8d99
	.long	185662179                       ; 0xb10fae3
	.long	536505093                       ; 0x1ffa6b05
	.long	2727322952                      ; 0xa28fa548
	.long	3980498348                      ; 0xed4195ac
	;; [unrolled: 1-line block ×6, first 2 shown]
	.long	533384122                       ; 0x1fcacbba
	.long	277613480                       ; 0x108c0ba8
	.long	1815540358                      ; 0x6c36f286
	.long	282763841                       ; 0x10daa241
	.long	3669112623                      ; 0xdab2372f
	.long	2572859425                      ; 0x995ab821
	.long	195220178                       ; 0xba2d2d2
	.long	1210883545                      ; 0x482c9dd9
	.long	2359703600                      ; 0x8ca63830
	;; [unrolled: 1-line block ×3, first 2 shown]
	.long	675732974                       ; 0x2846ddee
	.long	325036095                       ; 0x135fa83f
	;; [unrolled: 1-line block ×3, first 2 shown]
	.long	2556854604                      ; 0x9866814c
	.long	701006284                       ; 0x29c881cc
	.long	2378459191                      ; 0x8dc46837
	.long	1863513103                      ; 0x6f12f40f
	;; [unrolled: 1-line block ×6, first 2 shown]
	.long	521809106                       ; 0x1f1a2cd2
	.long	974368613                       ; 0x3a13af65
	.long	3136010957                      ; 0xbaebbacd
	.long	2722488678                      ; 0xa245e166
	;; [unrolled: 1-line block ×7, first 2 shown]
	.long	515543502                       ; 0x1eba91ce
	.long	1314129776                      ; 0x4e540770
	.long	3235373306                      ; 0xc0d7e0fa
	;; [unrolled: 1-line block ×4, first 2 shown]
	.long	559099351                       ; 0x21532dd7
	.long	186876368                       ; 0xb2381d0
	.long	1076102111                      ; 0x402403df
	.long	1218809551                      ; 0x48a58ecf
	;; [unrolled: 1-line block ×4, first 2 shown]
	.long	768125358                       ; 0x2dc8a9ae
	.long	1132864749                      ; 0x438624ed
	.long	4262563773                      ; 0xfe118fbd
	;; [unrolled: 1-line block ×7, first 2 shown]
	.long	724326159                       ; 0x2b2c570f
	.long	4134105682                      ; 0xf6697252
	.long	4188752746                      ; 0xf9ab4b6a
	;; [unrolled: 1-line block ×7, first 2 shown]
	.long	777862587                       ; 0x2e5d3dbb
	.long	39962002                        ; 0x261c592
	.long	3772005832                      ; 0xe0d43dc8
	.long	997473319                       ; 0x3b743c27
	.long	574843584                       ; 0x22436ac0
	.long	3356551974                      ; 0xc810eb26
	.long	1265234427                      ; 0x4b69f1fb
	;; [unrolled: 1-line block ×3, first 2 shown]
	.long	534747571                       ; 0x1fdf99b3
	.long	1465532164                      ; 0x575a3f04
	.long	3263029035                      ; 0xc27ddf2b
	.long	534512444                       ; 0x1fdc033c
	.long	2343092827                      ; 0x8ba8c25b
	.long	2375685652                      ; 0x8d9a1614
	;; [unrolled: 1-line block ×5, first 2 shown]
	.long	261114084                       ; 0xf9048e4
	.long	172755755                       ; 0xa4c0b2b
	.long	2737085495                      ; 0xa3249c37
	.long	2225257145                      ; 0x84a2bab9
	.long	148605658                       ; 0x8db8ada
	.long	1353911796                      ; 0x50b30df4
	.long	357753009                       ; 0x1552e0b1
	;; [unrolled: 2-line block ×3, first 2 shown]
	.long	4136467976                      ; 0xf68d7e08
	.long	2837964962                      ; 0xa927e8a2
	;; [unrolled: 1-line block ×8, first 2 shown]
	.long	915444966                       ; 0x369094e6
	.long	2299938515                      ; 0x891646d3
	.long	3351580749                      ; 0xc7c5104d
	.long	506575598                       ; 0x1e31baee
	.long	1541916825                      ; 0x5be7c899
	.long	3465300401                      ; 0xce8c49b1
	.long	525927458                       ; 0x1f590422
	.long	681152801                       ; 0x28999121
	;; [unrolled: 1-line block ×3, first 2 shown]
	.long	3624685846                      ; 0xd80c5116
	.long	2994172100                      ; 0xb27770c4
	;; [unrolled: 1-line block ×4, first 2 shown]
	.long	815689760                       ; 0x309e7020
	.long	1710961092                      ; 0x65fb31c4
	.long	2775607076                      ; 0xa5706724
	;; [unrolled: 1-line block ×6, first 2 shown]
	.long	2736754                         ; 0x29c272
	.long	1646031035                      ; 0x621c70bb
	.long	2448701214                      ; 0x91f4371e
	;; [unrolled: 1-line block ×5, first 2 shown]
	.long	300773646                       ; 0x11ed710e
	.long	3125160783                      ; 0xba462b4f
	.long	1247453205                      ; 0x4a5aa015
	;; [unrolled: 1-line block ×4, first 2 shown]
	.long	904135764                       ; 0x35e40454
	.long	876847374                       ; 0x3443a10e
	;; [unrolled: 1-line block ×3, first 2 shown]
	.long	2541269205                      ; 0x9778b0d5
	.long	131376648                       ; 0x7d4a608
	.long	1805948133                      ; 0x6ba494e5
	.long	3383589530                      ; 0xc9ad7a9a
	;; [unrolled: 1-line block ×13, first 2 shown]
	.long	902282791                       ; 0x35c7be27
	.long	1143943232                      ; 0x442f3040
	.long	3568431811                      ; 0xd4b1f2c3
	;; [unrolled: 1-line block ×3, first 2 shown]
	.long	193362198                       ; 0xb867916
	.long	2509297125                      ; 0x9590d5e5
	.long	3968551582                      ; 0xec8b4a9e
	;; [unrolled: 1-line block ×12, first 2 shown]
	.long	860834162                       ; 0x334f4972
	.long	3741677748                      ; 0xdf0578b4
	.long	3780327829                      ; 0xe1533995
	;; [unrolled: 1-line block ×4, first 2 shown]
	.long	559568669                       ; 0x215a571d
	.long	2758650294                      ; 0xa46da9b6
	.long	647308222                       ; 0x269523be
	.long	3901603996                      ; 0xe88dc09c
	.long	1778653821                      ; 0x6a041a7d
	;; [unrolled: 1-line block ×8, first 2 shown]
	.long	91368462                        ; 0x5722c0e
	.long	1883994950                      ; 0x704b7b46
	.long	1506873376                      ; 0x59d11020
	;; [unrolled: 1-line block ×7, first 2 shown]
	.long	427845396                       ; 0x19806714
	.long	2714836263                      ; 0xa1d11d27
	.long	1259019491                      ; 0x4b0b1ce3
	;; [unrolled: 1-line block ×6, first 2 shown]
	.long	176883719                       ; 0xa8b0807
	.long	2031844862                      ; 0x791b7dfe
	.long	1272380790                      ; 0x4bd6fd76
	;; [unrolled: 1-line block ×5, first 2 shown]
	.long	311436877                       ; 0x1290264d
	.long	3627785554                      ; 0xd83b9d52
	.long	1889491722                      ; 0x709f5b0a
	.long	2938069193                      ; 0xaf1f60c9
	.long	2771940687                      ; 0xa538754f
	.long	2756955968                      ; 0xa453cf40
	.long	4289348777                      ; 0xffaa44a9
	.long	263514583                       ; 0xfb4e9d7
	.long	887207028                       ; 0x34e1b474
	.long	3522902525                      ; 0xd1fb39fd
	.long	2273246349                      ; 0x877efc8d
	.long	835377715                       ; 0x31cada33
	.long	2897243319                      ; 0xacb06cb7
	.long	204645450                       ; 0xc32a44a
	;; [unrolled: 2-line block ×3, first 2 shown]
	.long	2856296318                      ; 0xaa3f9f7e
	.long	3032942383                      ; 0xb4c7072f
	;; [unrolled: 1-line block ×4, first 2 shown]
	.long	202834023                       ; 0xc170067
	.long	1876303820                      ; 0x6fd61fcc
	.long	1434703409                      ; 0x5583d631
	;; [unrolled: 1-line block ×3, first 2 shown]
	.long	848853780                       ; 0x32987b14
	.long	4188621628                      ; 0xf9a94b3c
	.long	928095314                       ; 0x37519c52
	.long	876412914                       ; 0x343cfff2
	.long	3446576392                      ; 0xcd6e9508
	.long	3235688990                      ; 0xc0dcb21e
	;; [unrolled: 1-line block ×5, first 2 shown]
	.long	399997246                       ; 0x17d7793e
	.long	1642535200                      ; 0x61e71920
	.long	3872575068                      ; 0xe6d2ce5c
	.long	1577956550                      ; 0x5e0db4c6
	.long	3606228634                      ; 0xd6f2ae9a
	.long	609914462                       ; 0x245a8e5e
	.long	653194726                       ; 0x26eef5e6
	.long	4048067248                      ; 0xf1489ab0
	.long	2500767965                      ; 0x950eb0dd
	.long	1125167825                      ; 0x4310b2d1
	.long	3707628088                      ; 0xdcfdea38
	.long	1819135158                      ; 0x6c6dccb6
	.long	1875618971                      ; 0x6fcbac9b
	.long	3865851141                      ; 0xe66c3505
	.long	328215079                       ; 0x13902a27
	.long	1695889194                      ; 0x6515372a
	.long	2040280471                      ; 0x799c3597
	;; [unrolled: 1-line block ×4, first 2 shown]
	.long	293050253                       ; 0x1177978d
	.long	525570078                       ; 0x1f53901e
	.long	2655676443                      ; 0x9e4a681b
	.long	1392199429                      ; 0x52fb4705
	;; [unrolled: 1-line block ×5, first 2 shown]
	.long	247937142                       ; 0xec73876
	.long	2534538765                      ; 0x9711fe0d
	.long	365841057                       ; 0x15ce4aa1
	.long	2449431033                      ; 0x91ff59f9
	.long	2456532429                      ; 0x926bb5cd
	.long	101910696                       ; 0x61308a8
	.long	1247069485                      ; 0x4a54c52d
	.long	1523958293                      ; 0x5ad5c215
	;; [unrolled: 1-line block ×3, first 2 shown]
	.long	473709728                       ; 0x1c3c3ca0
	.long	3026667113                      ; 0xb4674669
	.long	2071968844                      ; 0x7b7fbc4c
	.long	324025193                       ; 0x13503b69
	.long	423064436                       ; 0x19377374
	.long	3870800061                      ; 0xe6b7b8bd
	.long	3977393138                      ; 0xed1233f2
	;; [unrolled: 1-line block ×3, first 2 shown]
	.long	352757977                       ; 0x1506a8d9
	.long	1584833348                      ; 0x5e76a344
	.long	3173248650                      ; 0xbd23ee8a
	;; [unrolled: 1-line block ×5, first 2 shown]
	.long	617281070                       ; 0x24caf62e
	.long	1958012761                      ; 0x74b4e759
	.long	4031667102                      ; 0xf04e5b9e
	;; [unrolled: 1-line block ×11, first 2 shown]
	.long	24973500                        ; 0x17d10bc
	.long	1705444176                      ; 0x65a70350
	.long	713642505                       ; 0x2a895209
	.long	3017719513                      ; 0xb3debed9
	.long	2090715200                      ; 0x7c9dc840
	;; [unrolled: 1-line block ×3, first 2 shown]
	.long	37117223                        ; 0x2365d27
	.long	1948295454                      ; 0x7420a11e
	.long	3055840561                      ; 0xb6246d31
	;; [unrolled: 1-line block ×4, first 2 shown]
	.long	527899063                       ; 0x1f7719b7
	.long	4285770666                      ; 0xff73abaa
	.long	1075524023                      ; 0x401b31b7
	;; [unrolled: 1-line block ×3, first 2 shown]
	.long	392943522                       ; 0x176bd7a2
	.long	171012646                       ; 0xa317226
	.long	3515750082                      ; 0xd18e16c2
	.long	3414659054                      ; 0xcb878fee
	;; [unrolled: 1-line block ×6, first 2 shown]
	.long	90134967                        ; 0x55f59b7
	.long	363058647                       ; 0x15a3d5d7
	.long	3289266998                      ; 0xc40e3b36
	.long	2470752727                      ; 0x9344b1d7
	;; [unrolled: 1-line block ×5, first 2 shown]
	.long	860834162                       ; 0x334f4972
	.long	1791097822                      ; 0x6ac1fbde
	.long	3780327829                      ; 0xe1533995
	;; [unrolled: 1-line block ×4, first 2 shown]
	.long	559568669                       ; 0x215a571d
	.long	3503319486                      ; 0xd0d069be
	.long	647308222                       ; 0x269523be
	.long	3901603996                      ; 0xe88dc09c
	.long	1778653821                      ; 0x6a041a7d
	.long	3618523672                      ; 0xd7ae4a18
	.long	4294594427                      ; 0xfffa4f7b
	.long	4261179460                      ; 0xfdfc7044
	.long	3285764480                      ; 0xc3d8c980
	.long	3334002738                      ; 0xc6b8d832
	.long	3215795953                      ; 0xbfad26f1
	.long	212518363                       ; 0xcaac5db
	.long	1883994950                      ; 0x704b7b46
	.long	1506873376                      ; 0x59d11020
	;; [unrolled: 1-line block ×7, first 2 shown]
	.long	427845396                       ; 0x19806714
	.long	2714836263                      ; 0xa1d11d27
	.long	2744363872                      ; 0xa393ab60
	;; [unrolled: 1-line block ×12, first 2 shown]
	.long	311436877                       ; 0x1290264d
	.long	3627785554                      ; 0xd83b9d52
	.long	1889491722                      ; 0x709f5b0a
	;; [unrolled: 1-line block ×6, first 2 shown]
	.long	263514583                       ; 0xfb4e9d7
	.long	887207028                       ; 0x34e1b474
	.long	2097276163                      ; 0x7d01e503
	.long	2273246349                      ; 0x877efc8d
	.long	835377715                       ; 0x31cada33
	.long	2897243319                      ; 0xacb06cb7
	.long	204645450                       ; 0xc32a44a
	;; [unrolled: 2-line block ×3, first 2 shown]
	.long	2856296318                      ; 0xaa3f9f7e
	.long	3032942383                      ; 0xb4c7072f
	.long	2845501282                      ; 0xa99ae762
	.long	28260330                        ; 0x1af37ea
	.long	202834023                       ; 0xc170067
	.long	1876303820                      ; 0x6fd61fcc
	.long	1434703409                      ; 0x5583d631
	;; [unrolled: 1-line block ×5, first 2 shown]
	.long	928095314                       ; 0x37519c52
	.long	876412914                       ; 0x343cfff2
	.long	3446576392                      ; 0xcd6e9508
	.long	117581687                       ; 0x7022777
	.long	4021419931                      ; 0xefb1ff9b
	.long	2483628986                      ; 0x94092bba
	;; [unrolled: 1-line block ×3, first 2 shown]
	.long	399997246                       ; 0x17d7793e
	.long	4254101087                      ; 0xfd906e5f
	.long	3872575068                      ; 0xe6d2ce5c
	;; [unrolled: 1-line block ×4, first 2 shown]
	.long	609914462                       ; 0x245a8e5e
	.long	4003279048                      ; 0xee9d30c8
	.long	4048067248                      ; 0xf1489ab0
	.long	2500767965                      ; 0x950eb0dd
	.long	1125167825                      ; 0x4310b2d1
	.long	3707628088                      ; 0xdcfdea38
	.long	922020515                       ; 0x36f4eaa3
	.long	1875618971                      ; 0x6fcbac9b
	.long	3865851141                      ; 0xe66c3505
	.long	328215079                       ; 0x13902a27
	.long	1695889194                      ; 0x6515372a
	.long	625773097                       ; 0x254c8a29
	.long	3384684457                      ; 0xc9be2fa9
	.long	2540504961                      ; 0x976d0781
	.long	293050253                       ; 0x1177978d
	.long	525570078                       ; 0x1f53901e
	.long	2592805114                      ; 0x9a8b10fa
	.long	1392199429                      ; 0x52fb4705
	;; [unrolled: 1-line block ×7, first 2 shown]
	.long	365841057                       ; 0x15ce4aa1
	.long	2449431033                      ; 0x91ff59f9
	.long	2456532429                      ; 0x926bb5cd
	;; [unrolled: 1-line block ×6, first 2 shown]
	.long	473709728                       ; 0x1c3c3ca0
	.long	720895889                       ; 0x2af7ff91
	.long	2071968844                      ; 0x7b7fbc4c
	.long	324025193                       ; 0x13503b69
	.long	423064436                       ; 0x19377374
	.long	3870800061                      ; 0xe6b7b8bd
	.long	3535536111                      ; 0xd2bbffef
	;; [unrolled: 1-line block ×3, first 2 shown]
	.long	352757977                       ; 0x1506a8d9
	.long	1584833348                      ; 0x5e76a344
	.long	3173248650                      ; 0xbd23ee8a
	;; [unrolled: 1-line block ×5, first 2 shown]
	.long	617281070                       ; 0x24caf62e
	.long	1958012761                      ; 0x74b4e759
	.long	778965559                       ; 0x2e6e1237
	.long	3232142321                      ; 0xc0a693f1
	.long	3087428595                      ; 0xb8066bf3
	.long	2380824676                      ; 0x8de88064
	.long	1194087757                      ; 0x472c554d
	.long	3880222002                      ; 0xe7477d32
	.long	4163350364                      ; 0xf827af5c
	.long	1721646249                      ; 0x669e3ca9
	.long	1672791861                      ; 0x63b4c735
	.long	2900511710                      ; 0xace24bde
	.long	702936770                       ; 0x29e5f6c2
	.long	1705444176                      ; 0x65a70350
	.long	713642505                       ; 0x2a895209
	.long	3017719513                      ; 0xb3debed9
	.long	2090715200                      ; 0x7c9dc840
	;; [unrolled: 1-line block ×3, first 2 shown]
	.long	37117223                        ; 0x2365d27
	.long	1948295454                      ; 0x7420a11e
	.long	3055840561                      ; 0xb6246d31
	;; [unrolled: 1-line block ×3, first 2 shown]
	.long	464173532                       ; 0x1baab9dc
	.long	527899063                       ; 0x1f7719b7
	.long	4285770666                      ; 0xff73abaa
	.long	1075524023                      ; 0x401b31b7
	;; [unrolled: 1-line block ×4, first 2 shown]
	.long	171012646                       ; 0xa317226
	.long	3515750082                      ; 0xd18e16c2
	.long	3414659054                      ; 0xcb878fee
	;; [unrolled: 1-line block ×6, first 2 shown]
	.long	90134967                        ; 0x55f59b7
	.long	363058647                       ; 0x15a3d5d7
	.long	4112991722                      ; 0xf52745ea
	.long	2470752727                      ; 0x9344b1d7
	;; [unrolled: 1-line block ×10, first 2 shown]
	.long	153020604                       ; 0x91ee8bc
	.long	3503319486                      ; 0xd0d069be
	.long	647308222                       ; 0x269523be
	.long	3901603996                      ; 0xe88dc09c
	.long	1778653821                      ; 0x6a041a7d
	.long	221887019                       ; 0xd39ba2b
	.long	4294594427                      ; 0xfffa4f7b
	.long	4261179460                      ; 0xfdfc7044
	;; [unrolled: 1-line block ×5, first 2 shown]
	.long	212518363                       ; 0xcaac5db
	.long	1883994950                      ; 0x704b7b46
	.long	1506873376                      ; 0x59d11020
	.long	1527780962                      ; 0x5b101662
	.long	430180116                       ; 0x19a40714
	.long	2398655600                      ; 0x8ef89470
	.long	2389066602                      ; 0x8e66436a
	.long	1574939945                      ; 0x5ddfad29
	;; [unrolled: 4-line block ×3, first 2 shown]
	.long	2584034689                      ; 0x9a053d81
	.long	3151382431                      ; 0xbbd6479f
	.long	752704472                       ; 0x2cdd5bd8
	.long	2787053497                      ; 0xa61f0fb9
	.long	2031844862                      ; 0x791b7dfe
	;; [unrolled: 1-line block ×6, first 2 shown]
	.long	311436877                       ; 0x1290264d
	.long	3627785554                      ; 0xd83b9d52
	.long	1889491722                      ; 0x709f5b0a
	;; [unrolled: 1-line block ×6, first 2 shown]
	.long	263514583                       ; 0xfb4e9d7
	.long	3778019638                      ; 0xe1300136
	.long	2097276163                      ; 0x7d01e503
	.long	2273246349                      ; 0x877efc8d
	.long	835377715                       ; 0x31cada33
	.long	2897243319                      ; 0xacb06cb7
	.long	1060067446                      ; 0x3f2f5876
	.long	4233399907                      ; 0xfc548e63
	;; [unrolled: 4-line block ×3, first 2 shown]
	.long	28260330                        ; 0x1af37ea
	.long	202834023                       ; 0xc170067
	.long	1876303820                      ; 0x6fd61fcc
	.long	1434703409                      ; 0x5583d631
	;; [unrolled: 1-line block ×5, first 2 shown]
	.long	928095314                       ; 0x37519c52
	.long	876412914                       ; 0x343cfff2
	.long	3785385583                      ; 0xe1a0666f
	.long	117581687                       ; 0x7022777
	.long	4021419931                      ; 0xefb1ff9b
	.long	2483628986                      ; 0x94092bba
	;; [unrolled: 1-line block ×13, first 2 shown]
	.long	928465955                       ; 0x37574423
	.long	922020515                       ; 0x36f4eaa3
	.long	1875618971                      ; 0x6fcbac9b
	.long	3865851141                      ; 0xe66c3505
	.long	328215079                       ; 0x13902a27
	.long	173810260                       ; 0xa5c2254
	;; [unrolled: 1-line block ×3, first 2 shown]
	.long	3384684457                      ; 0xc9be2fa9
	.long	2540504961                      ; 0x976d0781
	.long	293050253                       ; 0x1177978d
	.long	2645143254                      ; 0x9da9aed6
	.long	2592805114                      ; 0x9a8b10fa
	;; [unrolled: 1-line block ×5, first 2 shown]
	.long	162781360                       ; 0x9b3d8b0
	.long	3190958614                      ; 0xbe322a16
	.long	2534538765                      ; 0x9711fe0d
	.long	365841057                       ; 0x15ce4aa1
	.long	2449431033                      ; 0x91ff59f9
	.long	3105377832                      ; 0xb9184e28
	;; [unrolled: 1-line block ×6, first 2 shown]
	.long	800971948                       ; 0x2fbddcac
	.long	720895889                       ; 0x2af7ff91
	.long	2071968844                      ; 0x7b7fbc4c
	.long	324025193                       ; 0x13503b69
	.long	423064436                       ; 0x19377374
	.long	52577992                        ; 0x32246c8
	.long	3535536111                      ; 0xd2bbffef
	.long	3632553233                      ; 0xd8845d11
	.long	352757977                       ; 0x1506a8d9
	.long	1584833348                      ; 0x5e76a344
	.long	3305908059                      ; 0xc50c275b
	;; [unrolled: 1-line block ×5, first 2 shown]
	.long	617281070                       ; 0x24caf62e
	.long	264880505                       ; 0xfc9c179
	.long	778965559                       ; 0x2e6e1237
	.long	3232142321                      ; 0xc0a693f1
	.long	3087428595                      ; 0xb8066bf3
	;; [unrolled: 1-line block ×9, first 2 shown]
	.long	702936770                       ; 0x29e5f6c2
	.long	1705444176                      ; 0x65a70350
	.long	713642505                       ; 0x2a895209
	.long	3017719513                      ; 0xb3debed9
	.long	197200752                       ; 0xbc10b70
	.long	1477858694                      ; 0x58165586
	.long	37117223                        ; 0x2365d27
	.long	1948295454                      ; 0x7420a11e
	.long	3055840561                      ; 0xb6246d31
	;; [unrolled: 1-line block ×3, first 2 shown]
	.long	464173532                       ; 0x1baab9dc
	.long	527899063                       ; 0x1f7719b7
	.long	4285770666                      ; 0xff73abaa
	.long	1075524023                      ; 0x401b31b7
	;; [unrolled: 1-line block ×4, first 2 shown]
	.long	171012646                       ; 0xa317226
	.long	3515750082                      ; 0xd18e16c2
	.long	3414659054                      ; 0xcb878fee
	.long	818571456                       ; 0x30ca68c0
	.long	1631555059                      ; 0x613f8df3
	.long	2662104279                      ; 0x9eac7cd7
	;; [unrolled: 1-line block ×3, first 2 shown]
	.long	90134967                        ; 0x55f59b7
	.long	952712086                       ; 0x38c93b96
	.long	4112991722                      ; 0xf52745ea
	.long	2470752727                      ; 0x9344b1d7
	;; [unrolled: 1-line block ×4, first 2 shown]
	.long	888975816                       ; 0x34fcb1c8
	.long	4152098951                      ; 0xf77c0087
	.long	1791097822                      ; 0x6ac1fbde
	.long	3780327829                      ; 0xe1533995
	.long	1693730265                      ; 0x64f445d9
	.long	3406785510                      ; 0xcb0f6be6
	.long	153020604                       ; 0x91ee8bc
	.long	3503319486                      ; 0xd0d069be
	.long	647308222                       ; 0x269523be
	.long	3901603996                      ; 0xe88dc09c
	.long	3753248472                      ; 0xdfb606d8
	.long	221887019                       ; 0xd39ba2b
	.long	4294594427                      ; 0xfffa4f7b
	.long	4261179460                      ; 0xfdfc7044
	;; [unrolled: 1-line block ×5, first 2 shown]
	.long	212518363                       ; 0xcaac5db
	.long	1883994950                      ; 0x704b7b46
	.long	1506873376                      ; 0x59d11020
	;; [unrolled: 1-line block ×3, first 2 shown]
	.long	430180116                       ; 0x19a40714
	.long	2398655600                      ; 0x8ef89470
	.long	2389066602                      ; 0x8e66436a
	.long	1574939945                      ; 0x5ddfad29
	.long	2852159074                      ; 0xaa007e62
	.long	1683639957                      ; 0x645a4e95
	.long	2744363872                      ; 0xa393ab60
	.long	2493238133                      ; 0x949bcb75
	.long	2584034689                      ; 0x9a053d81
	.long	1952065633                      ; 0x745a2861
	.long	752704472                       ; 0x2cdd5bd8
	.long	2787053497                      ; 0xa61f0fb9
	.long	2031844862                      ; 0x791b7dfe
	;; [unrolled: 1-line block ×6, first 2 shown]
	.long	311436877                       ; 0x1290264d
	.long	3627785554                      ; 0xd83b9d52
	.long	3410473245                      ; 0xcb47b11d
	;; [unrolled: 1-line block ×10, first 2 shown]
	.long	835377715                       ; 0x31cada33
	.long	3127280755                      ; 0xba668473
	.long	1060067446                      ; 0x3f2f5876
	;; [unrolled: 1-line block ×3, first 2 shown]
	.long	639470242                       ; 0x261d8aa2
	.long	2856296318                      ; 0xaa3f9f7e
	.long	2615775011                      ; 0x9be98f23
	.long	2351047932                      ; 0x8c2224fc
	.long	28260330                        ; 0x1af37ea
	.long	202834023                       ; 0xc170067
	.long	1876303820                      ; 0x6fd61fcc
	.long	619308202                       ; 0x24e9e4aa
	.long	3094305336                      ; 0xb86f5a38
	.long	2455670466                      ; 0x925e8ec2
	;; [unrolled: 1-line block ×3, first 2 shown]
	.long	928095314                       ; 0x37519c52
	.long	3764894047                      ; 0xe067b95f
	.long	3785385583                      ; 0xe1a0666f
	.long	117581687                       ; 0x7022777
	.long	4021419931                      ; 0xefb1ff9b
	.long	2483628986                      ; 0x94092bba
	.long	3759839215                      ; 0xe01a97ef
	.long	1867816730                      ; 0x6f549f1a
	.long	4254101087                      ; 0xfd906e5f
	.long	3872575068                      ; 0xe6d2ce5c
	.long	1577956550                      ; 0x5e0db4c6
	.long	1687107439                      ; 0x648f376f
	.long	3081878598                      ; 0xb7b1bc46
	.long	4003279048                      ; 0xee9d30c8
	.long	4048067248                      ; 0xf1489ab0
	.long	2500767965                      ; 0x950eb0dd
	.long	2804044146                      ; 0xa7225172
	.long	928465955                       ; 0x37574423
	.long	922020515                       ; 0x36f4eaa3
	.long	1875618971                      ; 0x6fcbac9b
	.long	3865851141                      ; 0xe66c3505
	;; [unrolled: 1-line block ×3, first 2 shown]
	.long	173810260                       ; 0xa5c2254
	.long	625773097                       ; 0x254c8a29
	.long	3384684457                      ; 0xc9be2fa9
	.long	2540504961                      ; 0x976d0781
	;; [unrolled: 1-line block ×8, first 2 shown]
	.long	162781360                       ; 0x9b3d8b0
	.long	3190958614                      ; 0xbe322a16
	.long	2534538765                      ; 0x9711fe0d
	.long	365841057                       ; 0x15ce4aa1
	.long	3843585067                      ; 0xe518742b
	.long	3105377832                      ; 0xb9184e28
	;; [unrolled: 1-line block ×5, first 2 shown]
	.long	293374051                       ; 0x117c8863
	.long	800971948                       ; 0x2fbddcac
	;; [unrolled: 1-line block ×3, first 2 shown]
	.long	2071968844                      ; 0x7b7fbc4c
	.long	324025193                       ; 0x13503b69
	.long	3342361801                      ; 0xc73864c9
	.long	52577992                        ; 0x32246c8
	.long	3535536111                      ; 0xd2bbffef
	.long	3632553233                      ; 0xd8845d11
	.long	352757977                       ; 0x1506a8d9
	.long	1386594581                      ; 0x52a5c115
	.long	3305908059                      ; 0xc50c275b
	.long	2649344603                      ; 0x9de9ca5b
	.long	1501841977                      ; 0x59844a39
	.long	1751860798                      ; 0x686b463e
	.long	3160423601                      ; 0xbc603cb1
	.long	264880505                       ; 0xfc9c179
	.long	778965559                       ; 0x2e6e1237
	.long	3232142321                      ; 0xc0a693f1
	.long	3087428595                      ; 0xb8066bf3
	;; [unrolled: 1-line block ×9, first 2 shown]
	.long	702936770                       ; 0x29e5f6c2
	.long	1705444176                      ; 0x65a70350
	.long	713642505                       ; 0x2a895209
	.long	1717761787                      ; 0x6662f6fb
	.long	197200752                       ; 0xbc10b70
	.long	1477858694                      ; 0x58165586
	.long	37117223                        ; 0x2365d27
	.long	1948295454                      ; 0x7420a11e
	.long	896215772                       ; 0x356b2adc
	.long	1588372042                      ; 0x5eaca24a
	.long	464173532                       ; 0x1baab9dc
	.long	527899063                       ; 0x1f7719b7
	.long	4285770666                      ; 0xff73abaa
	.long	3441409029                      ; 0xcd1fbc05
	;; [unrolled: 1-line block ×4, first 2 shown]
	.long	171012646                       ; 0xa317226
	.long	3515750082                      ; 0xd18e16c2
	.long	2216687886                      ; 0x841ff90e
	.long	818571456                       ; 0x30ca68c0
	.long	1631555059                      ; 0x613f8df3
	.long	2662104279                      ; 0x9eac7cd7
	;; [unrolled: 1-line block ×3, first 2 shown]
	.long	369438400                       ; 0x16052ec0
	.long	329003658                       ; 0x139c328a
	.long	1503365029                      ; 0x599b87a5
	.long	4215790910                      ; 0xfb47dd3e
	;; [unrolled: 1-line block ×3, first 2 shown]
	.long	733526983                       ; 0x2bb8bbc7
	.long	2935318632                      ; 0xaef56868
	.long	1792331479                      ; 0x6ad4ced7
	.long	608347530                       ; 0x2442a58a
	.long	392723097                       ; 0x17687a99
	.long	1330445854                      ; 0x4f4cfe1e
	.long	3473004271                      ; 0xcf01d6ef
	;; [unrolled: 1-line block ×6, first 2 shown]
	.long	409769584                       ; 0x186c9670
	.long	2943326880                      ; 0xaf6f9aa0
	.long	3746302819                      ; 0xdf4c0b63
	;; [unrolled: 1-line block ×5, first 2 shown]
	.long	832105292                       ; 0x3198eb4c
	.long	2119405275                      ; 0x7e538edb
	.long	538318455                       ; 0x20161677
	.long	2981192295                      ; 0xb1b16267
	.long	861775416                       ; 0x335da638
	.long	609718403                       ; 0x24579083
	.long	3531204230                      ; 0xd279e686
	.long	1904759571                      ; 0x71885313
	;; [unrolled: 1-line block ×4, first 2 shown]
	.long	460454984                       ; 0x1b71fc48
	.long	946700253                       ; 0x386d7fdd
	.long	3763898311                      ; 0xe05887c7
	.long	1571175213                      ; 0x5da63b2d
	;; [unrolled: 1-line block ×9, first 2 shown]
	.long	772727786                       ; 0x2e0ee3ea
	.long	247203117                       ; 0xebc052d
	;; [unrolled: 1-line block ×4, first 2 shown]
	.long	2027348597                      ; 0x78d6e275
	.long	764933887                       ; 0x2d97f6ff
	.long	3812479771                      ; 0xe33dd31b
	.long	1825807084                      ; 0x6cd39aec
	;; [unrolled: 1-line block ×7, first 2 shown]
	.long	423506843                       ; 0x193e339b
	.long	3070938758                      ; 0xb70ace86
	.long	653091413                       ; 0x26ed6255
	.long	2267423132                      ; 0x8726219c
	.long	2004263526                      ; 0x7776a266
	;; [unrolled: 1-line block ×4, first 2 shown]
	.long	841138314                       ; 0x3222c08a
	.long	1260317857                      ; 0x4b1eeca1
	.long	3887432433                      ; 0xe7b582f1
	;; [unrolled: 1-line block ×3, first 2 shown]
	.long	764233331                       ; 0x2d8d4673
	.long	1794763428                      ; 0x6af9eaa4
	.long	3005903468                      ; 0xb32a726c
	.long	877926770                       ; 0x34541972
	.long	2466593927                      ; 0x93053c87
	.long	2971729561                      ; 0xb120fe99
	.long	3203070565                      ; 0xbeeafa65
	.long	4198500026                      ; 0xfa4006ba
	.long	815665759                       ; 0x309e125f
	.long	2434508139                      ; 0x911ba56b
	.long	1840456368                      ; 0x6db322b0
	;; [unrolled: 1-line block ×3, first 2 shown]
	.long	17077200                        ; 0x10493d0
	.long	3178380570                      ; 0xbd723d1a
	.long	990304199                       ; 0x3b06d7c7
	.long	3578008580                      ; 0xd5441404
	.long	1965763660                      ; 0x752b2c4c
	.long	1640352477                      ; 0x61c5cadd
	.long	750159594                       ; 0x2cb686ea
	.long	2047409402                      ; 0x7a08fcfa
	.long	3576308245                      ; 0xd52a2215
	.long	544920564                       ; 0x207ad3f4
	.long	1730124869                      ; 0x671f9c45
	.long	1194761386                      ; 0x47369caa
	;; [unrolled: 1-line block ×3, first 2 shown]
	.long	147334027                       ; 0x8c8238b
	.long	2870674244                      ; 0xab1b0344
	.long	2076860776                      ; 0x7bca6168
	;; [unrolled: 1-line block ×4, first 2 shown]
	.long	401966468                       ; 0x17f58584
	.long	1610650855                      ; 0x600094e7
	.long	193868446                       ; 0xb8e329e
	.long	3808157106                      ; 0xe2fbddb2
	.long	1509130117                      ; 0x59f37f85
	.long	1324484736                      ; 0x4ef20880
	.long	3852893217                      ; 0xe5a67c21
	.long	1059179497                      ; 0x3f21cbe9
	.long	4053543778                      ; 0xf19c2b62
	.long	2557844172                      ; 0x98759acc
	.long	3282312002                      ; 0xc3a41b42
	.long	682550058                       ; 0x28aee32a
	.long	4281899173                      ; 0xff3898a5
	.long	137171998                       ; 0x82d141e
	.long	3239159214                      ; 0xc111a5ae
	.long	2258610918                      ; 0x869faae6
	.long	426724741                       ; 0x196f4d85
	.long	3502660993                      ; 0xd0c65d81
	.long	135977383                       ; 0x81ad9a7
	.long	429929363                       ; 0x19a03393
	.long	3984458137                      ; 0xed7e0199
	.long	964026748                       ; 0x3975e17c
	.long	2182019070                      ; 0x820ef7fe
	.long	3836562946                      ; 0xe4ad4e02
	.long	515026869                       ; 0x1eb2afb5
	.long	359030455                       ; 0x15665eb7
	.long	1301694917                      ; 0x4d9649c5
	.long	2300414803                      ; 0x891d8b53
	.long	2364654981                      ; 0x8cf1c585
	.long	3804876710                      ; 0xe2c9cfa6
	.long	171119249                       ; 0xa331291
	.long	2646785698                      ; 0x9dc2bea2
	.long	4283509387                      ; 0xff512a8b
	;; [unrolled: 1-line block ×6, first 2 shown]
	.long	23007314                        ; 0x15f1052
	.long	3598880509                      ; 0xd6828efd
	.long	4160517314                      ; 0xf7fc74c2
	.long	112205578                       ; 0x6b01f0a
	.long	1677675411                      ; 0x63ff4b93
	.long	734881643                       ; 0x2bcd676b
	.long	2830770338                      ; 0xa8ba20a2
	.long	3470317145                      ; 0xced8d659
	;; [unrolled: 1-line block ×18, first 2 shown]
	.long	764751784                       ; 0x2d952fa8
	.long	3006878591                      ; 0xb339537f
	.long	2565473087                      ; 0x98ea033f
	;; [unrolled: 1-line block ×4, first 2 shown]
	.long	630435548                       ; 0x2593aedc
	.long	73598765                        ; 0x463072d
	.long	1467331930                      ; 0x5775b55a
	.long	3988027050                      ; 0xedb476aa
	;; [unrolled: 1-line block ×3, first 2 shown]
	.long	91261543                        ; 0x5708a67
	.long	980989218                       ; 0x3a78b522
	.long	2227515435                      ; 0x84c5302b
	.long	236831608                       ; 0xe1dc378
	.long	2872772569                      ; 0xab3b07d9
	.long	2330469327                      ; 0x8ae823cf
	;; [unrolled: 1-line block ×5, first 2 shown]
	.long	126418114                       ; 0x788fcc2
	.long	127789935                       ; 0x79deb6f
	.long	2114249438                      ; 0x7e04e2de
	.long	2933346767                      ; 0xaed751cf
	.long	639483386                       ; 0x261dbdfa
	.long	1532399845                      ; 0x5b5690e5
	.long	2182422151                      ; 0x82151e87
	;; [unrolled: 3-line block ×3, first 2 shown]
	.long	3828295651                      ; 0xe42f27e3
	.long	3963199356                      ; 0xec399f7c
	;; [unrolled: 1-line block ×6, first 2 shown]
	.long	432131993                       ; 0x19c1cf99
	.long	667709537                       ; 0x27cc7061
	;; [unrolled: 1-line block ×3, first 2 shown]
	.long	2304714957                      ; 0x895f28cd
	.long	629309008                       ; 0x25827e50
	.long	116453438                       ; 0x6f0f03e
	.long	3051811727                      ; 0xb5e6f38f
	.long	3490241985                      ; 0xd008ddc1
	;; [unrolled: 1-line block ×26, first 2 shown]
	.long	799826424                       ; 0x2fac61f8
	.long	3094672168                      ; 0xb874f328
	.long	3535834360                      ; 0xd2c08cf8
	;; [unrolled: 1-line block ×4, first 2 shown]
	.long	520495112                       ; 0x1f062008
	.long	575315345                       ; 0x224a9d91
	.long	3823364867                      ; 0xe3e3eb03
	.long	2424349582                      ; 0x9080a38e
	;; [unrolled: 1-line block ×3, first 2 shown]
	.long	310789314                       ; 0x128644c2
	.long	4207205257                      ; 0xfac4db89
	.long	553462404                       ; 0x20fd2a84
	.long	2918228443                      ; 0xadf0a1db
	.long	2568360580                      ; 0x99161284
	;; [unrolled: 1-line block ×3, first 2 shown]
	.long	874197736                       ; 0x341b32e8
	.long	3329267685                      ; 0xc67097e5
	.long	1186352580                      ; 0x46b64dc4
	;; [unrolled: 1-line block ×8, first 2 shown]
	.long	990374143                       ; 0x3b07e8ff
	.long	2080149357                      ; 0x7bfc8f6d
	.long	4047813631                      ; 0xf144bbff
	.long	2019887940                      ; 0x78650b44
	.long	578660736                       ; 0x227da980
	.long	2145680301                      ; 0x7fe47bad
	.long	2328411541                      ; 0x8ac8bd95
	.long	1572704242                      ; 0x5dbd8ff2
	;; [unrolled: 4-line block ×3, first 2 shown]
	.long	1385163990                      ; 0x528fecd6
	.long	1935250885                      ; 0x735995c5
	.long	1132987169                      ; 0x43880321
	.long	581690993                       ; 0x22abe671
	.long	3172043012                      ; 0xbd118904
	.long	628071512                       ; 0x256f9c58
	.long	2851125739                      ; 0xa9f0b9eb
	.long	2735324847                      ; 0xa309beaf
	;; [unrolled: 1-line block ×5, first 2 shown]
	.long	706277272                       ; 0x2a18ef98
	.long	2971786942                      ; 0xb121debe
	.long	2811957324                      ; 0xa79b104c
	;; [unrolled: 1-line block ×5, first 2 shown]
	.long	31952251                        ; 0x1e78d7b
	.long	2802110464                      ; 0xa704d000
	.long	2391618856                      ; 0x8e8d3528
	;; [unrolled: 1-line block ×6, first 2 shown]
	.long	101928462                       ; 0x6134e0e
	.long	477629709                       ; 0x1c780d0d
	.long	4257022506                      ; 0xfdbd022a
	.long	3281706767                      ; 0xc39adf0f
	;; [unrolled: 1-line block ×3, first 2 shown]
	.long	736533968                       ; 0x2be69dd0
	.long	2543083137                      ; 0x97945e81
	.long	3430523686                      ; 0xcc79a326
	;; [unrolled: 1-line block ×4, first 2 shown]
	.long	341993500                       ; 0x1462681c
	.long	406782950                       ; 0x183f03e6
	.long	1770032304                      ; 0x69808cb0
	.long	125786076                       ; 0x77f57dc
	.long	1321359723                      ; 0x4ec2596b
	.long	2901696227                      ; 0xacf45ee3
	;; [unrolled: 1-line block ×6, first 2 shown]
	.long	914173231                       ; 0x367d2d2f
	.long	3734092059                      ; 0xde91b91b
	.long	1652333721                      ; 0x627c9c99
	;; [unrolled: 1-line block ×3, first 2 shown]
	.long	329706426                       ; 0x13a6ebba
	.long	1022239203                      ; 0x3cee21e3
	.long	1832393502                      ; 0x6d381b1e
	;; [unrolled: 1-line block ×5, first 2 shown]
	.long	366391010                       ; 0x15d6aee2
	.long	2237068647                      ; 0x8556f567
	.long	2887356463                      ; 0xac19902f
	.long	304718827                       ; 0x1229a3eb
	.long	3969799795                      ; 0xec9e5673
	.long	2565473087                      ; 0x98ea033f
	;; [unrolled: 1-line block ×4, first 2 shown]
	.long	630435548                       ; 0x2593aedc
	.long	3758124054                      ; 0xe0006c16
	.long	1467331930                      ; 0x5775b55a
	;; [unrolled: 1-line block ×4, first 2 shown]
	.long	91261543                        ; 0x5708a67
	.long	836545831                       ; 0x31dcad27
	.long	2227515435                      ; 0x84c5302b
	.long	236831608                       ; 0xe1dc378
	.long	2872772569                      ; 0xab3b07d9
	.long	2330469327                      ; 0x8ae823cf
	;; [unrolled: 1-line block ×5, first 2 shown]
	.long	126418114                       ; 0x788fcc2
	.long	127789935                       ; 0x79deb6f
	.long	1648940583                      ; 0x6248d627
	.long	2933346767                      ; 0xaed751cf
	.long	639483386                       ; 0x261dbdfa
	.long	1532399845                      ; 0x5b5690e5
	.long	2182422151                      ; 0x82151e87
	;; [unrolled: 1-line block ×11, first 2 shown]
	.long	432131993                       ; 0x19c1cf99
	.long	2416600665                      ; 0x900a6659
	.long	874477513                       ; 0x341f77c9
	.long	2304714957                      ; 0x895f28cd
	.long	629309008                       ; 0x25827e50
	.long	116453438                       ; 0x6f0f03e
	.long	2586542760                      ; 0x9a2b82a8
	.long	3490241985                      ; 0xd008ddc1
	;; [unrolled: 1-line block ×5, first 2 shown]
	.long	452934545                       ; 0x1aff3b91
	.long	2408437363                      ; 0x8f8dd673
	.long	1433161037                      ; 0x556c4d4d
	.long	3245468546                      ; 0xc171eb82
	.long	2494529842                      ; 0x94af8132
	.long	2244403710                      ; 0x85c6e1fe
	.long	1966342448                      ; 0x75340130
	.long	3092333073                      ; 0xb8514211
	.long	1861880941                      ; 0x6efa0c6d
	.long	3990012367                      ; 0xedd2c1cf
	.long	2774994234                      ; 0xa5670d3a
	.long	2526395471                      ; 0x9695bc4f
	.long	1884691351                      ; 0x70561b97
	.long	2145882162                      ; 0x7fe79032
	.long	2561288457                      ; 0x98aa2909
	.long	2303702146                      ; 0x894fb482
	.long	1154858044                      ; 0x44d5bc3c
	.long	1643256991                      ; 0x61f21c9f
	.long	3172857504                      ; 0xbd1df6a0
	.long	1096492713                      ; 0x415b26a9
	.long	130979316                       ; 0x7ce95f4
	.long	799826424                       ; 0x2fac61f8
	.long	3094672168                      ; 0xb874f328
	.long	3535834360                      ; 0xd2c08cf8
	;; [unrolled: 1-line block ×3, first 2 shown]
	.long	935499492                       ; 0x37c296e4
	.long	520495112                       ; 0x1f062008
	;; [unrolled: 1-line block ×3, first 2 shown]
	.long	3823364867                      ; 0xe3e3eb03
	.long	2424349582                      ; 0x9080a38e
	.long	2272973265                      ; 0x877ad1d1
	.long	310789314                       ; 0x128644c2
	.long	4207205257                      ; 0xfac4db89
	.long	553462404                       ; 0x20fd2a84
	.long	2918228443                      ; 0xadf0a1db
	.long	2613016888                      ; 0x9bbf7938
	.long	3863565851                      ; 0xe649561b
	.long	874197736                       ; 0x341b32e8
	.long	3329267685                      ; 0xc67097e5
	.long	1186352580                      ; 0x46b64dc4
	;; [unrolled: 1-line block ×8, first 2 shown]
	.long	990374143                       ; 0x3b07e8ff
	.long	2080149357                      ; 0x7bfc8f6d
	.long	4047813631                      ; 0xf144bbff
	;; [unrolled: 1-line block ×7, first 2 shown]
	.long	405739686                       ; 0x182f18a6
	.long	63633520                        ; 0x3caf870
	.long	2046317220                      ; 0x79f852a4
	.long	4021497634                      ; 0xefb32f22
	;; [unrolled: 1-line block ×5, first 2 shown]
	.long	581690993                       ; 0x22abe671
	.long	3172043012                      ; 0xbd118904
	.long	628071512                       ; 0x256f9c58
	.long	2851125739                      ; 0xa9f0b9eb
	.long	3726073981                      ; 0xde17607d
	;; [unrolled: 1-line block ×5, first 2 shown]
	.long	706277272                       ; 0x2a18ef98
	.long	3817450114                      ; 0xe389aa82
	.long	2811957324                      ; 0xa79b104c
	;; [unrolled: 1-line block ×12, first 2 shown]
	.long	101928462                       ; 0x6134e0e
	.long	477629709                       ; 0x1c780d0d
	.long	4257022506                      ; 0xfdbd022a
	.long	2679409844                      ; 0x9fb48cb4
	;; [unrolled: 1-line block ×3, first 2 shown]
	.long	736533968                       ; 0x2be69dd0
	.long	2543083137                      ; 0x97945e81
	.long	3430523686                      ; 0xcc79a326
	;; [unrolled: 1-line block ×4, first 2 shown]
	.long	341993500                       ; 0x1462681c
	.long	406782950                       ; 0x183f03e6
	.long	1770032304                      ; 0x69808cb0
	.long	2617760292                      ; 0x9c07da24
	.long	1321359723                      ; 0x4ec2596b
	.long	2901696227                      ; 0xacf45ee3
	.long	1890958265                      ; 0x70b5bbb9
	.long	3610842776                      ; 0xd7391698
	.long	2666109620                      ; 0x9ee99ab4
	.long	1564088598                      ; 0x5d3a1916
	.long	914173231                       ; 0x367d2d2f
	.long	3734092059                      ; 0xde91b91b
	.long	1652333721                      ; 0x627c9c99
	;; [unrolled: 1-line block ×3, first 2 shown]
	.long	329706426                       ; 0x13a6ebba
	.long	1022239203                      ; 0x3cee21e3
	.long	1832393502                      ; 0x6d381b1e
	;; [unrolled: 1-line block ×5, first 2 shown]
	.long	366391010                       ; 0x15d6aee2
	.long	2237068647                      ; 0x8556f567
	.long	2887356463                      ; 0xac19902f
	;; [unrolled: 1-line block ×13, first 2 shown]
	.long	836545831                       ; 0x31dcad27
	.long	2227515435                      ; 0x84c5302b
	.long	236831608                       ; 0xe1dc378
	.long	2872772569                      ; 0xab3b07d9
	;; [unrolled: 2-line block ×3, first 2 shown]
	.long	2883791516                      ; 0xabe32a9c
	.long	4170143763                      ; 0xf88f5813
	.long	126418114                       ; 0x788fcc2
	.long	3811390247                      ; 0xe32d3327
	.long	1648940583                      ; 0x6248d627
	;; [unrolled: 1-line block ×3, first 2 shown]
	.long	639483386                       ; 0x261dbdfa
	.long	1532399845                      ; 0x5b5690e5
	.long	4165970043                      ; 0xf84fa87b
	.long	2470139222                      ; 0x933b5556
	.long	2376371063                      ; 0x8da48b77
	.long	3398508789                      ; 0xca9120f5
	.long	3828295651                      ; 0xe42f27e3
	.long	4066952157                      ; 0xf268c3dd
	.long	2997263135                      ; 0xb2a69b1f
	.long	4206759111                      ; 0xfabe0cc7
	.long	1266176088                      ; 0x4b785058
	.long	3210273687                      ; 0xbf58e397
	.long	560560354                       ; 0x216978e2
	.long	2416600665                      ; 0x900a6659
	.long	874477513                       ; 0x341f77c9
	.long	2304714957                      ; 0x895f28cd
	.long	629309008                       ; 0x25827e50
	.long	2010844440                      ; 0x77db0d18
	.long	2586542760                      ; 0x9a2b82a8
	.long	3490241985                      ; 0xd008ddc1
	;; [unrolled: 1-line block ×4, first 2 shown]
	.long	855615381                       ; 0x32ffa795
	.long	452934545                       ; 0x1aff3b91
	.long	2408437363                      ; 0x8f8dd673
	.long	1433161037                      ; 0x556c4d4d
	;; [unrolled: 1-line block ×19, first 2 shown]
	.long	130979316                       ; 0x7ce95f4
	.long	799826424                       ; 0x2fac61f8
	.long	3094672168                      ; 0xb874f328
	.long	3535834360                      ; 0xd2c08cf8
	.long	915442396                       ; 0x36908adc
	.long	935499492                       ; 0x37c296e4
	;; [unrolled: 1-line block ×4, first 2 shown]
	.long	3823364867                      ; 0xe3e3eb03
	.long	2876158574                      ; 0xab6eb26e
	;; [unrolled: 1-line block ×3, first 2 shown]
	.long	310789314                       ; 0x128644c2
	.long	4207205257                      ; 0xfac4db89
	.long	553462404                       ; 0x20fd2a84
	.long	2184663001                      ; 0x82374fd9
	.long	2613016888                      ; 0x9bbf7938
	;; [unrolled: 1-line block ×3, first 2 shown]
	.long	874197736                       ; 0x341b32e8
	.long	3329267685                      ; 0xc67097e5
	.long	3447734684                      ; 0xcd80419c
	;; [unrolled: 1-line block ×8, first 2 shown]
	.long	990374143                       ; 0x3b07e8ff
	.long	2080149357                      ; 0x7bfc8f6d
	.long	4047813631                      ; 0xf144bbff
	;; [unrolled: 1-line block ×8, first 2 shown]
	.long	63633520                        ; 0x3caf870
	.long	2046317220                      ; 0x79f852a4
	.long	4021497634                      ; 0xefb32f22
	;; [unrolled: 1-line block ×5, first 2 shown]
	.long	581690993                       ; 0x22abe671
	.long	3172043012                      ; 0xbd118904
	.long	628071512                       ; 0x256f9c58
	.long	2790170929                      ; 0xa64ea131
	.long	3726073981                      ; 0xde17607d
	;; [unrolled: 1-line block ×15, first 2 shown]
	.long	453222948                       ; 0x1b03a224
	.long	2210258428                      ; 0x83bdddfc
	.long	2825634835                      ; 0xa86bc413
	.long	101928462                       ; 0x6134e0e
	.long	477629709                       ; 0x1c780d0d
	;; [unrolled: 1-line block ×3, first 2 shown]
	.long	2679409844                      ; 0x9fb48cb4
	.long	2576087732                      ; 0x998bfab4
	.long	736533968                       ; 0x2be69dd0
	.long	2543083137                      ; 0x97945e81
	.long	1101977922                      ; 0x41aed942
	;; [unrolled: 1-line block ×4, first 2 shown]
	.long	341993500                       ; 0x1462681c
	.long	406782950                       ; 0x183f03e6
	.long	3057489804                      ; 0xb63d978c
	.long	2617760292                      ; 0x9c07da24
	;; [unrolled: 1-line block ×8, first 2 shown]
	.long	914173231                       ; 0x367d2d2f
	.long	3734092059                      ; 0xde91b91b
	.long	908525903                       ; 0x3627014f
	.long	3456779008                      ; 0xce0a4300
	;; [unrolled: 2-line block ×3, first 2 shown]
	.long	1832393502                      ; 0x6d381b1e
	.long	4024857205                      ; 0xefe67275
	;; [unrolled: 1-line block ×4, first 2 shown]
	.long	366391010                       ; 0x15d6aee2
	.long	2237068647                      ; 0x8556f567
	.long	1564059380                      ; 0x5d39a6f4
	;; [unrolled: 1-line block ×11, first 2 shown]
	.long	810008243                       ; 0x3047beb3
	.long	1796797949                      ; 0x6b18f5fd
	.long	836545831                       ; 0x31dcad27
	.long	2227515435                      ; 0x84c5302b
	.long	236831608                       ; 0xe1dc378
	.long	608273331                       ; 0x244183b3
	;; [unrolled: 1-line block ×3, first 2 shown]
	.long	3439193753                      ; 0xccfdee99
	.long	2883791516                      ; 0xabe32a9c
	;; [unrolled: 1-line block ×7, first 2 shown]
	.long	639483386                       ; 0x261dbdfa
	.long	1685761277                      ; 0x647aacfd
	.long	4165970043                      ; 0xf84fa87b
	;; [unrolled: 1-line block ×10, first 2 shown]
	.long	333592630                       ; 0x13e23836
	.long	560560354                       ; 0x216978e2
	.long	2416600665                      ; 0x900a6659
	.long	874477513                       ; 0x341f77c9
	.long	2304714957                      ; 0x895f28cd
	.long	1438974661                      ; 0x55c502c5
	;; [unrolled: 1-line block ×7, first 2 shown]
	.long	855615381                       ; 0x32ffa795
	.long	452934545                       ; 0x1aff3b91
	.long	2408437363                      ; 0x8f8dd673
	.long	1433161037                      ; 0x556c4d4d
	;; [unrolled: 1-line block ×19, first 2 shown]
	.long	130979316                       ; 0x7ce95f4
	.long	799826424                       ; 0x2fac61f8
	.long	3094672168                      ; 0xb874f328
	.long	2214560871                      ; 0x83ff8467
	.long	915442396                       ; 0x36908adc
	.long	935499492                       ; 0x37c296e4
	;; [unrolled: 1-line block ×4, first 2 shown]
	.long	3894763683                      ; 0xe82560a3
	.long	2876158574                      ; 0xab6eb26e
	.long	2272973265                      ; 0x877ad1d1
	.long	310789314                       ; 0x128644c2
	.long	4207205257                      ; 0xfac4db89
	.long	3203740771                      ; 0xbef53463
	.long	2184663001                      ; 0x82374fd9
	.long	2613016888                      ; 0x9bbf7938
	.long	3863565851                      ; 0xe649561b
	.long	874197736                       ; 0x341b32e8
	.long	3371653768                      ; 0xc8f75a88
	.long	3447734684                      ; 0xcd80419c
	;; [unrolled: 6-line block ×3, first 2 shown]
	.long	990374143                       ; 0x3b07e8ff
	.long	2080149357                      ; 0x7bfc8f6d
	.long	554816113                       ; 0x2111d271
	.long	2728282767                      ; 0xa29e4a8f
	.long	1133329900                      ; 0x438d3dec
	;; [unrolled: 1-line block ×6, first 2 shown]
	.long	63633520                        ; 0x3caf870
	.long	2046317220                      ; 0x79f852a4
	.long	4021497634                      ; 0xefb32f22
	.long	4185731269                      ; 0xf97d30c5
	.long	1582181054                      ; 0x5e4e2abe
	.long	1762959503                      ; 0x6914a08f
	.long	581690993                       ; 0x22abe671
	.long	3172043012                      ; 0xbd118904
	.long	3142596028                      ; 0xbb5035bc
	;; [unrolled: 1-line block ×17, first 2 shown]
	.long	453222948                       ; 0x1b03a224
	.long	2210258428                      ; 0x83bdddfc
	.long	2825634835                      ; 0xa86bc413
	.long	101928462                       ; 0x6134e0e
	.long	26373721                        ; 0x1926e59
	.long	410621659                       ; 0x187996db
	.long	2679409844                      ; 0x9fb48cb4
	.long	2576087732                      ; 0x998bfab4
	.long	736533968                       ; 0x2be69dd0
	.long	888001208                       ; 0x34edd2b8
	.long	1101977922                      ; 0x41aed942
	.long	1122549807                      ; 0x42e8c02f
	;; [unrolled: 1-line block ×3, first 2 shown]
	.long	341993500                       ; 0x1462681c
	.long	3243663736                      ; 0xc1566178
	.long	3057489804                      ; 0xb63d978c
	;; [unrolled: 1-line block ×9, first 2 shown]
	.long	914173231                       ; 0x367d2d2f
	.long	1857869366                      ; 0x6ebcd636
	.long	908525903                       ; 0x3627014f
	.long	3456779008                      ; 0xce0a4300
	.long	329706426                       ; 0x13a6ebba
	.long	1022239203                      ; 0x3cee21e3
	.long	2622178179                      ; 0x9c4b4383
	.long	4024857205                      ; 0xefe67275
	;; [unrolled: 1-line block ×4, first 2 shown]
	.long	366391010                       ; 0x15d6aee2
	.long	3722250905                      ; 0xdddd0a99
	.long	2880126367                      ; 0xabab3d9f
	;; [unrolled: 1-line block ×9, first 2 shown]
	.long	89818497                        ; 0x55a8581
	.long	1961701523                      ; 0x74ed3093
	.long	3704300476                      ; 0xdccb23bc
	;; [unrolled: 1-line block ×8, first 2 shown]
	.long	956677756                       ; 0x3905be7c
	.long	2073145924                      ; 0x7b91b244
	.long	726634994                       ; 0x2b4f91f2
	.long	119064196                       ; 0x718c684
	.long	2046275296                      ; 0x79f7aee0
	.long	2105141632                      ; 0x7d79e980
	.long	1023267361                      ; 0x3cfdd221
	.long	1204528080                      ; 0x47cba3d0
	.long	623740611                       ; 0x252d86c3
	.long	1419328884                      ; 0x54993d74
	.long	933734693                       ; 0x37a7a925
	.long	2030900835                      ; 0x790d1663
	.long	2556538268                      ; 0x9861ad9c
	;; [unrolled: 1-line block ×10, first 2 shown]
	.long	330223096                       ; 0x13aecdf8
	.long	3915966823                      ; 0xe968e967
	.long	2646760259                      ; 0x9dc25b43
	.long	1724289351                      ; 0x66c69147
	.long	4015221358                      ; 0xef536a6e
	.long	2338587000                      ; 0x8b640178
	.long	110922222                       ; 0x69c89ee
	.long	2314933196                      ; 0x89fb13cc
	.long	4026908935                      ; 0xf005c107
	;; [unrolled: 1-line block ×4, first 2 shown]
	.long	84271650                        ; 0x505e222
	.long	731354215                       ; 0x2b979467
	.long	2358136447                      ; 0x8c8e4e7f
	.long	1069348214                      ; 0x3fbcf576
	;; [unrolled: 1-line block ×7, first 2 shown]
	.long	54276972                        ; 0x33c336c
	.long	560967905                       ; 0x216fb0e1
	.long	2363475740                      ; 0x8cdfc71c
	.long	331250049                       ; 0x13be7981
	.long	3024074455                      ; 0xb43fb6d7
	.long	186605617                       ; 0xb1f6031
	.long	389582566                       ; 0x17388ee6
	.long	1258386782                      ; 0x4b01755e
	.long	703909543                       ; 0x29f4cea7
	.long	3968367083                      ; 0xec8879eb
	.long	1553533794                      ; 0x5c990b62
	;; [unrolled: 1-line block ×4, first 2 shown]
	.long	921983735                       ; 0x36f45af7
	.long	3573813763                      ; 0xd5041203
	.long	1280477631                      ; 0x4c5289bf
	;; [unrolled: 1-line block ×9, first 2 shown]
	.long	785284052                       ; 0x2ece7bd4
	.long	4227164890                      ; 0xfbf56ada
	.long	2874735332                      ; 0xab58fae4
	;; [unrolled: 1-line block ×7, first 2 shown]
	.long	456550349                       ; 0x1b3667cd
	.long	1143881236                      ; 0x442e3e14
	.long	3560103440                      ; 0xd432de10
	;; [unrolled: 1-line block ×9, first 2 shown]
	.long	148227073                       ; 0x8d5c401
	.long	3812110998                      ; 0xe3383296
	.long	1317300278                      ; 0x4e846836
	.long	3068446245                      ; 0xb6e4c625
	.long	3376284001                      ; 0xc93e0161
	.long	3164402992                      ; 0xbc9cf530
	.long	2730404635                      ; 0xa2beab1b
	.long	2848239579                      ; 0xa9c4afdb
	.long	3008959791                      ; 0xb359152f
	.long	2901849226                      ; 0xacf6b48a
	.long	1234485739                      ; 0x4994c1eb
	.long	869158554                       ; 0x33ce4e9a
	.long	245101118                       ; 0xe9bf23e
	.long	1724974650                      ; 0x66d1063a
	.long	3851803199                      ; 0xe595da3f
	.long	922411232                       ; 0x36fae0e0
	.long	3046280696                      ; 0xb5928df8
	.long	3284392523                      ; 0xc3c3da4b
	;; [unrolled: 1-line block ×4, first 2 shown]
	.long	381450957                       ; 0x16bc7acd
	.long	1741009694                      ; 0x67c5b31e
	.long	4222244451                      ; 0xfbaa5663
	.long	102929888                       ; 0x62295e0
	.long	1668474417                      ; 0x6372e631
	.long	3881791214                      ; 0xe75f6eee
	;; [unrolled: 1-line block ×9, first 2 shown]
	.long	720438965                       ; 0x2af106b5
	.long	2120786297                      ; 0x7e68a179
	.long	453980990                       ; 0x1b0f333e
	.long	1048501876                      ; 0x3e7ede74
	.long	4060576583                      ; 0xf2077b47
	;; [unrolled: 1-line block ×4, first 2 shown]
	.long	691572481                       ; 0x29388f01
	.long	3899584121                      ; 0xe86eee79
	.long	1582529013                      ; 0x5e5379f5
	;; [unrolled: 1-line block ×8, first 2 shown]
	.long	249758705                       ; 0xee303f1
	.long	1535363329                      ; 0x5b83c901
	.long	893329207                       ; 0x353f1f37
	.long	51912312                        ; 0x3181e78
	.long	3440532856                      ; 0xcd125d78
	.long	3736385218                      ; 0xdeb4b6c2
	.long	295452658                       ; 0x119c3ff2
	.long	2379709553                      ; 0x8dd77c71
	.long	1647382020                      ; 0x62310e04
	;; [unrolled: 1-line block ×10, first 2 shown]
	.long	282442925                       ; 0x10d5bcad
	.long	2418524976                      ; 0x9027c330
	.long	3196072648                      ; 0xbe8032c8
	;; [unrolled: 1-line block ×17, first 2 shown]
	.long	8772004                         ; 0x85d9a4
	.long	2476324234                      ; 0x9399b58a
	.long	3600148050                      ; 0xd695e652
	;; [unrolled: 1-line block ×4, first 2 shown]
	.long	108768238                       ; 0x67babee
	.long	1339513738                      ; 0x4fd75b8a
	.long	447593731                       ; 0x1aadbd03
	.long	2742877256                      ; 0xa37cfc48
	.long	2488536667                      ; 0x94540e5b
	;; [unrolled: 1-line block ×3, first 2 shown]
	.long	808657962                       ; 0x3033242a
	.long	2422880287                      ; 0x906a381f
	.long	390864786                       ; 0x174c1f92
	.long	3381554683                      ; 0xc98e6dfb
	.long	760628048                       ; 0x2d564350
	.long	353395922                       ; 0x151064d2
	.long	3577556262                      ; 0xd53d2d26
	.long	2482413928                      ; 0x93f6a168
	.long	507756643                       ; 0x1e43c063
	.long	839344953                       ; 0x32076339
	.long	3505184848                      ; 0xd0ece050
	.long	3945044582                      ; 0xeb249a66
	;; [unrolled: 1-line block ×21, first 2 shown]
	.long	932941454                       ; 0x379b8e8e
	.long	4276317539                      ; 0xfee36d63
	.long	343449784                       ; 0x1478a0b8
	.long	1913556027                      ; 0x720e8c3b
	.long	1493892363                      ; 0x590afd0b
	;; [unrolled: 1-line block ×5, first 2 shown]
	.long	28742917                        ; 0x1b69505
	.long	4009448584                      ; 0xeefb5488
	.long	530945117                       ; 0x1fa5945d
	.long	3165875131                      ; 0xbcb36bbb
	.long	1018448712                      ; 0x3cb44b48
	.long	110256395                       ; 0x692610b
	.long	3550192264                      ; 0xd39ba288
	.long	1279873435                      ; 0x4c49519b
	;; [unrolled: 1-line block ×3, first 2 shown]
	.long	517650895                       ; 0x1edab9cf
	.long	1957973772                      ; 0x74b44f0c
	.long	619869608                       ; 0x24f275a8
	.long	4260458157                      ; 0xfdf16ead
	.long	2281748739                      ; 0x8800b903
	;; [unrolled: 1-line block ×5, first 2 shown]
	.long	508630251                       ; 0x1e5114eb
	.long	3761850170                      ; 0xe039473a
	.long	3992979014                      ; 0xee000646
	;; [unrolled: 1-line block ×9, first 2 shown]
	.long	798494760                       ; 0x2f981028
	.long	2981622008                      ; 0xb1b7f0f8
	.long	4152623583                      ; 0xf78401df
	.long	576409629                       ; 0x225b501d
	.long	2312811213                      ; 0x89dab2cd
	.long	992326282                       ; 0x3b25b28a
	.long	261645450                       ; 0xf98648a
	.long	1818084365                      ; 0x6c5dc40d
	.long	3357150904                      ; 0xc81a0eb8
	.long	144093                          ; 0x232dd
	.long	1937589359                      ; 0x737d446f
	.long	2016990596                      ; 0x7838d584
	.long	4273422066                      ; 0xfeb73ef2
	.long	588267732                       ; 0x231040d4
	.long	3592151118                      ; 0xd61be04e
	.long	3846596932                      ; 0xe5466944
	;; [unrolled: 1-line block ×3, first 2 shown]
	.long	944363907                       ; 0x3849d983
	.long	1288613766                      ; 0x4cceaf86
	.long	1707163456                      ; 0x65c13f40
	;; [unrolled: 1-line block ×12, first 2 shown]
	.long	361099994                       ; 0x1585f2da
	.long	3566745727                      ; 0xd498387f
	.long	3658112707                      ; 0xda0a5ec3
	;; [unrolled: 1-line block ×8, first 2 shown]
	.long	130421713                       ; 0x7c613d1
	.long	2658878825                      ; 0x9e7b4569
	.long	1566180833                      ; 0x5d5a05e1
	.long	1572228417                      ; 0x5db64d41
	.long	531947625                       ; 0x1fb4e069
	.long	3774861000                      ; 0xe0ffcec8
	.long	1894712110                      ; 0x70ef032e
	.long	1319199233                      ; 0x4ea16201
	.long	865634052                       ; 0x33988704
	.long	2602102379                      ; 0x9b18ee6b
	.long	3389730171                      ; 0xca0b2d7b
	.long	3878969250                      ; 0xe7345fa2
	.long	107983959                       ; 0x66fb457
	.long	1601930856                      ; 0x5f7b8668
	.long	2511728925                      ; 0x95b5f11d
	.long	2146946013                      ; 0x7ff7cbdd
	.long	497511195                       ; 0x1da76b1b
	.long	720616881                       ; 0x2af3bdb1
	.long	699892123                       ; 0x29b7819b
	.long	2404505137                      ; 0x8f51d631
	.long	2656498433                      ; 0x9e56f301
	;; [unrolled: 1-line block ×8, first 2 shown]
	.long	282442925                       ; 0x10d5bcad
	.long	2418524976                      ; 0x9027c330
	.long	3196072648                      ; 0xbe8032c8
	;; [unrolled: 1-line block ×17, first 2 shown]
	.long	825853576                       ; 0x31398688
	.long	2476324234                      ; 0x9399b58a
	.long	3600148050                      ; 0xd695e652
	;; [unrolled: 1-line block ×4, first 2 shown]
	.long	528751585                       ; 0x1f841be1
	.long	1339513738                      ; 0x4fd75b8a
	.long	447593731                       ; 0x1aadbd03
	.long	2742877256                      ; 0xa37cfc48
	.long	2488536667                      ; 0x94540e5b
	;; [unrolled: 1-line block ×3, first 2 shown]
	.long	808657962                       ; 0x3033242a
	.long	2422880287                      ; 0x906a381f
	.long	390864786                       ; 0x174c1f92
	.long	3381554683                      ; 0xc98e6dfb
	.long	2682225618                      ; 0x9fdf83d2
	.long	353395922                       ; 0x151064d2
	.long	3577556262                      ; 0xd53d2d26
	;; [unrolled: 3-line block ×3, first 2 shown]
	.long	3505184848                      ; 0xd0ece050
	.long	3945044582                      ; 0xeb249a66
	;; [unrolled: 1-line block ×9, first 2 shown]
	.long	607843308                       ; 0x243af3ec
	.long	3999302048                      ; 0xee6081a0
	.long	2761563885                      ; 0xa49a1eed
	.long	2882627112                      ; 0xabd16628
	.long	3126073009                      ; 0xba5416b1
	.long	1241524975                      ; 0x4a002aef
	.long	3152482044                      ; 0xbbe70efc
	.long	3040022505                      ; 0xb5330fe9
	.long	3249451214                      ; 0xc1aeb0ce
	.long	2933713956                      ; 0xaedcec24
	.long	420486142                       ; 0x19101bfe
	.long	1314806730                      ; 0x4e5e5bca
	.long	932941454                       ; 0x379b8e8e
	.long	4276317539                      ; 0xfee36d63
	;; [unrolled: 2-line block ×3, first 2 shown]
	.long	1493892363                      ; 0x590afd0b
	.long	2539517630                      ; 0x975df6be
	;; [unrolled: 1-line block ×6, first 2 shown]
	.long	530945117                       ; 0x1fa5945d
	.long	3165875131                      ; 0xbcb36bbb
	.long	1018448712                      ; 0x3cb44b48
	;; [unrolled: 1-line block ×6, first 2 shown]
	.long	517650895                       ; 0x1edab9cf
	.long	4036312766                      ; 0xf0953ebe
	.long	619869608                       ; 0x24f275a8
	.long	4260458157                      ; 0xfdf16ead
	.long	2281748739                      ; 0x8800b903
	;; [unrolled: 1-line block ×5, first 2 shown]
	.long	508630251                       ; 0x1e5114eb
	.long	3761850170                      ; 0xe039473a
	.long	3992979014                      ; 0xee000646
	;; [unrolled: 1-line block ×9, first 2 shown]
	.long	798494760                       ; 0x2f981028
	.long	2981622008                      ; 0xb1b7f0f8
	.long	4152623583                      ; 0xf78401df
	;; [unrolled: 1-line block ×4, first 2 shown]
	.long	992326282                       ; 0x3b25b28a
	.long	261645450                       ; 0xf98648a
	.long	1818084365                      ; 0x6c5dc40d
	.long	3681154045                      ; 0xdb69f3fd
	.long	144093                          ; 0x232dd
	.long	1937589359                      ; 0x737d446f
	.long	2016990596                      ; 0x7838d584
	.long	4273422066                      ; 0xfeb73ef2
	.long	2361898985                      ; 0x8cc7b7e9
	.long	3592151118                      ; 0xd61be04e
	.long	3846596932                      ; 0xe5466944
	.long	1198111464                      ; 0x4769bae8
	.long	944363907                       ; 0x3849d983
	.long	2866279694                      ; 0xaad7f50e
	.long	1707163456                      ; 0x65c13f40
	;; [unrolled: 1-line block ×12, first 2 shown]
	.long	361099994                       ; 0x1585f2da
	.long	3566745727                      ; 0xd498387f
	.long	3658112707                      ; 0xda0a5ec3
	.long	934740227                       ; 0x37b70103
	.long	2684702277                      ; 0xa0054e45
	.long	2880928862                      ; 0xabb77c5e
	;; [unrolled: 1-line block ×5, first 2 shown]
	.long	130421713                       ; 0x7c613d1
	.long	2658878825                      ; 0x9e7b4569
	.long	1566180833                      ; 0x5d5a05e1
	;; [unrolled: 1-line block ×7, first 2 shown]
	.long	865634052                       ; 0x33988704
	.long	283642947                       ; 0x10e80c43
	.long	3389730171                      ; 0xca0b2d7b
	.long	3878969250                      ; 0xe7345fa2
	.long	107983959                       ; 0x66fb457
	.long	1601930856                      ; 0x5f7b8668
	.long	3698217362                      ; 0xdc6e5192
	.long	2146946013                      ; 0x7ff7cbdd
	.long	497511195                       ; 0x1da76b1b
	.long	720616881                       ; 0x2af3bdb1
	;; [unrolled: 1-line block ×3, first 2 shown]
	.long	2117385156                      ; 0x7e34bbc4
	.long	2656498433                      ; 0x9e56f301
	;; [unrolled: 1-line block ×8, first 2 shown]
	.long	282442925                       ; 0x10d5bcad
	.long	2418524976                      ; 0x9027c330
	.long	3489510655                      ; 0xcffdb4ff
	;; [unrolled: 1-line block ×6, first 2 shown]
	.long	885541635                       ; 0x34c84b03
	.long	4079341490                      ; 0xf325cfb2
	.long	1397656146                      ; 0x534e8a52
	.long	2086257884                      ; 0x7c59c4dc
	.long	3834366725                      ; 0xe48bcb05
	.long	1049969755                      ; 0x3e95445b
	.long	3991197972                      ; 0xede4d914
	.long	1543996818                      ; 0x5c078592
	.long	2192688115                      ; 0x82b1c3f3
	.long	3081427696                      ; 0xb7aadaf0
	.long	2141948440                      ; 0x7fab8a18
	.long	825853576                       ; 0x31398688
	.long	2476324234                      ; 0x9399b58a
	.long	3600148050                      ; 0xd695e652
	;; [unrolled: 1-line block ×3, first 2 shown]
	.long	5160254                         ; 0x4ebd3e
	.long	528751585                       ; 0x1f841be1
	.long	1339513738                      ; 0x4fd75b8a
	.long	447593731                       ; 0x1aadbd03
	.long	2742877256                      ; 0xa37cfc48
	.long	3033397497                      ; 0xb4cdf8f9
	;; [unrolled: 1-line block ×3, first 2 shown]
	.long	808657962                       ; 0x3033242a
	.long	2422880287                      ; 0x906a381f
	.long	390864786                       ; 0x174c1f92
	.long	3191593886                      ; 0xbe3bdb9e
	.long	2682225618                      ; 0x9fdf83d2
	.long	353395922                       ; 0x151064d2
	.long	3577556262                      ; 0xd53d2d26
	.long	2482413928                      ; 0x93f6a168
	;; [unrolled: 1-line block ×13, first 2 shown]
	.long	607843308                       ; 0x243af3ec
	.long	3999302048                      ; 0xee6081a0
	.long	2761563885                      ; 0xa49a1eed
	.long	2882627112                      ; 0xabd16628
	.long	3912854189                      ; 0xe9396aad
	.long	1241524975                      ; 0x4a002aef
	.long	3152482044                      ; 0xbbe70efc
	.long	3040022505                      ; 0xb5330fe9
	.long	3249451214                      ; 0xc1aeb0ce
	.long	55140065                        ; 0x3495ee1
	.long	420486142                       ; 0x19101bfe
	.long	1314806730                      ; 0x4e5e5bca
	.long	932941454                       ; 0x379b8e8e
	.long	4276317539                      ; 0xfee36d63
	.long	1055315026                      ; 0x3ee6d452
	;; [unrolled: 1-line block ×9, first 2 shown]
	.long	530945117                       ; 0x1fa5945d
	.long	3165875131                      ; 0xbcb36bbb
	.long	2168411768                      ; 0x813f5678
	;; [unrolled: 1-line block ×8, first 2 shown]
	.long	619869608                       ; 0x24f275a8
	.long	4260458157                      ; 0xfdf16ead
	.long	2281748739                      ; 0x8800b903
	.long	98823023                        ; 0x5e3eb6f
	.long	1686790154                      ; 0x648a600a
	.long	3787481606                      ; 0xe1c06206
	.long	508630251                       ; 0x1e5114eb
	.long	3761850170                      ; 0xe039473a
	.long	2636025017                      ; 0x9d1e8cb9
	;; [unrolled: 1-line block ×6, first 2 shown]
	.long	978338993                       ; 0x3a5044b1
	.long	3066312306                      ; 0xb6c43672
	.long	3113171268                      ; 0xb98f3944
	.long	798494760                       ; 0x2f981028
	.long	2981622008                      ; 0xb1b7f0f8
	.long	2712384846                      ; 0xa1abb54e
	;; [unrolled: 1-line block ×4, first 2 shown]
	.long	992326282                       ; 0x3b25b28a
	.long	261645450                       ; 0xf98648a
	.long	66982935                        ; 0x3fe1417
	.long	3681154045                      ; 0xdb69f3fd
	.long	144093                          ; 0x232dd
	.long	1937589359                      ; 0x737d446f
	.long	2016990596                      ; 0x7838d584
	;; [unrolled: 1-line block ×12, first 2 shown]
	.long	913091437                       ; 0x366cab6d
	.long	3044280908                      ; 0xb5740a4c
	.long	3877442490                      ; 0xe71d13ba
	;; [unrolled: 1-line block ×7, first 2 shown]
	.long	361099994                       ; 0x1585f2da
	.long	3566745727                      ; 0xd498387f
	.long	2914687409                      ; 0xadba99b1
	.long	934740227                       ; 0x37b70103
	.long	2684702277                      ; 0xa0054e45
	.long	2880928862                      ; 0xabb77c5e
	.long	2044313931                      ; 0x79d9c14b
	.long	1515195925                      ; 0x5a500e15
	.long	1814569183                      ; 0x6c2820df
	.long	130421713                       ; 0x7c613d1
	.long	2658878825                      ; 0x9e7b4569
	.long	1566180833                      ; 0x5d5a05e1
	;; [unrolled: 1-line block ×7, first 2 shown]
	.long	287161774                       ; 0x111dbdae
	.long	283642947                       ; 0x10e80c43
	.long	3389730171                      ; 0xca0b2d7b
	.long	3878969250                      ; 0xe7345fa2
	.long	107983959                       ; 0x66fb457
	.long	3057929912                      ; 0xb6444eb8
	.long	3698217362                      ; 0xdc6e5192
	;; [unrolled: 1-line block ×3, first 2 shown]
	.long	497511195                       ; 0x1da76b1b
	.long	720616881                       ; 0x2af3bdb1
	.long	3570251850                      ; 0xd4cdb84a
	.long	2117385156                      ; 0x7e34bbc4
	;; [unrolled: 1-line block ×9, first 2 shown]
	.long	282442925                       ; 0x10d5bcad
	.long	2510419746                      ; 0x95a1f722
	.long	3489510655                      ; 0xcffdb4ff
	.long	2942944206                      ; 0xaf69c3ce
	.long	2072047145                      ; 0x7b80ee29
	.long	2985823503                      ; 0xb1f80d0f
	.long	978430777                       ; 0x3a51ab39
	.long	885541635                       ; 0x34c84b03
	.long	4079341490                      ; 0xf325cfb2
	.long	1397656146                      ; 0x534e8a52
	;; [unrolled: 1-line block ×3, first 2 shown]
	.long	134380865                       ; 0x8027d41
	.long	1049969755                      ; 0x3e95445b
	.long	3991197972                      ; 0xede4d914
	;; [unrolled: 1-line block ×6, first 2 shown]
	.long	825853576                       ; 0x31398688
	.long	2476324234                      ; 0x9399b58a
	.long	3600148050                      ; 0xd695e652
	.long	228461601                       ; 0xd9e0c21
	.long	5160254                         ; 0x4ebd3e
	.long	528751585                       ; 0x1f841be1
	.long	1339513738                      ; 0x4fd75b8a
	.long	447593731                       ; 0x1aadbd03
	.long	2852356745                      ; 0xaa038289
	.long	3033397497                      ; 0xb4cdf8f9
	;; [unrolled: 1-line block ×3, first 2 shown]
	.long	808657962                       ; 0x3033242a
	.long	2422880287                      ; 0x906a381f
	.long	3287655095                      ; 0xc3f5a2b7
	;; [unrolled: 1-line block ×4, first 2 shown]
	.long	353395922                       ; 0x151064d2
	.long	3577556262                      ; 0xd53d2d26
	.long	2542841784                      ; 0x9790afb8
	.long	1185107868                      ; 0x46a34f9c
	.long	3979211244                      ; 0xed2df1ec
	.long	3505184848                      ; 0xd0ece050
	.long	3945044582                      ; 0xeb249a66
	.long	2905156498                      ; 0xad292b92
	.long	3030493909                      ; 0xb4a1aad5
	.long	1841224078                      ; 0x6dbed98e
	.long	2036999647                      ; 0x796a25df
	.long	1369090013                      ; 0x519aa7dd
	.long	4246605417                      ; 0xfd1e0e69
	.long	3054343366                      ; 0xb60d94c6
	.long	607843308                       ; 0x243af3ec
	.long	3999302048                      ; 0xee6081a0
	.long	2761563885                      ; 0xa49a1eed
	;; [unrolled: 1-line block ×8, first 2 shown]
	.long	55140065                        ; 0x3495ee1
	.long	420486142                       ; 0x19101bfe
	.long	1314806730                      ; 0x4e5e5bca
	.long	932941454                       ; 0x379b8e8e
	.long	2708752494                      ; 0xa174486e
	.long	1055315026                      ; 0x3ee6d452
	;; [unrolled: 1-line block ×5, first 2 shown]
	.long	962728637                       ; 0x396212bd
	.long	4174985470                      ; 0xf8d938fe
	.long	2351652097                      ; 0x8c2b5d01
	;; [unrolled: 1-line block ×3, first 2 shown]
	.long	530945117                       ; 0x1fa5945d
	.long	3370859357                      ; 0xc8eb3b5d
	.long	2168411768                      ; 0x813f5678
	;; [unrolled: 1-line block ×8, first 2 shown]
	.long	619869608                       ; 0x24f275a8
	.long	4260458157                      ; 0xfdf16ead
	.long	199178828                       ; 0xbdf3a4c
	.long	98823023                        ; 0x5e3eb6f
	.long	1686790154                      ; 0x648a600a
	.long	3787481606                      ; 0xe1c06206
	.long	508630251                       ; 0x1e5114eb
	.long	4205010983                      ; 0xfaa36027
	.long	2636025017                      ; 0x9d1e8cb9
	;; [unrolled: 1-line block ×5, first 2 shown]
	.long	683127445                       ; 0x28b7b295
	.long	978338993                       ; 0x3a5044b1
	.long	3066312306                      ; 0xb6c43672
	.long	3113171268                      ; 0xb98f3944
	.long	798494760                       ; 0x2f981028
	.long	2823693013                      ; 0xa84e22d5
	.long	2712384846                      ; 0xa1abb54e
	;; [unrolled: 1-line block ×4, first 2 shown]
	.long	992326282                       ; 0x3b25b28a
	.long	3701928286                      ; 0xdca6f15e
	.long	66982935                        ; 0x3fe1417
	.long	3681154045                      ; 0xdb69f3fd
	.long	144093                          ; 0x232dd
	.long	1937589359                      ; 0x737d446f
	.long	1117717039                      ; 0x429f022f
	;; [unrolled: 1-line block ×12, first 2 shown]
	.long	913091437                       ; 0x366cab6d
	.long	3044280908                      ; 0xb5740a4c
	.long	3877442490                      ; 0xe71d13ba
	;; [unrolled: 1-line block ×7, first 2 shown]
	.long	361099994                       ; 0x1585f2da
	.long	3771108073                      ; 0xe0c68ae9
	.long	2914687409                      ; 0xadba99b1
	.long	934740227                       ; 0x37b70103
	.long	2684702277                      ; 0xa0054e45
	.long	2880928862                      ; 0xabb77c5e
	;; [unrolled: 1-line block ×5, first 2 shown]
	.long	130421713                       ; 0x7c613d1
	.long	2658878825                      ; 0x9e7b4569
	.long	354587729                       ; 0x15229451
	.long	2753417020                      ; 0xa41dcf3c
	.long	1784679035                      ; 0x6a600a7b
	;; [unrolled: 1-line block ×5, first 2 shown]
	.long	287161774                       ; 0x111dbdae
	.long	283642947                       ; 0x10e80c43
	.long	3389730171                      ; 0xca0b2d7b
	.long	3878969250                      ; 0xe7345fa2
	;; [unrolled: 1-line block ×6, first 2 shown]
	.long	497511195                       ; 0x1da76b1b
	.long	3121882901                      ; 0xba142715
	.long	426537369                       ; 0x196c7199
	.long	3852284416                      ; 0xe59d3200
	.long	4050544256                      ; 0xf16e6680
	;; [unrolled: 1-line block ×3, first 2 shown]
	.long	878474231                       ; 0x345c73f7
	.long	1369575859                      ; 0x51a211b3
	.long	2206199765                      ; 0x837fefd5
	.long	870626886                       ; 0x33e4b646
	.long	494668165                       ; 0x1d7c0985
	;; [unrolled: 1-line block ×3, first 2 shown]
	.long	3246772867                      ; 0xc185d283
	.long	1040178461                      ; 0x3dffdd1d
	;; [unrolled: 1-line block ×4, first 2 shown]
	.long	456758967                       ; 0x1b3996b7
	.long	4134137960                      ; 0xf669f068
	.long	3525051481                      ; 0xd21c0459
	;; [unrolled: 1-line block ×10, first 2 shown]
	.long	42139718                        ; 0x2830046
	.long	4212208866                      ; 0xfb1134e2
	.long	3874761488                      ; 0xe6f42b10
	;; [unrolled: 1-line block ×4, first 2 shown]
	.long	864533345                       ; 0x3387bb61
	.long	474524842                       ; 0x1c48acaa
	.long	2283847731                      ; 0x8820c033
	.long	283971243                       ; 0x10ed0eab
	.long	3607219686                      ; 0xd701cde6
	;; [unrolled: 2-line block ×4, first 2 shown]
	.long	4252134362                      ; 0xfd726bda
	.long	922033031                       ; 0x36f51b87
	.long	3615474721                      ; 0xd77fc421
	.long	1691563300                      ; 0x64d33524
	.long	3002653770                      ; 0xb2f8dc4a
	.long	2414043617                      ; 0x8fe361e1
	.long	2251931324                      ; 0x8639bebc
	.long	752654714                       ; 0x2cdc997a
	.long	4188343161                      ; 0xf9a50b79
	.long	305594960                       ; 0x12370250
	.long	1320443323                      ; 0x4eb45dbb
	;; [unrolled: 2-line block ×3, first 2 shown]
	.long	3608843538                      ; 0xd71a9512
	.long	2717312892                      ; 0xa1f6e77c
	;; [unrolled: 1-line block ×4, first 2 shown]
	.long	823626340                       ; 0x31178a64
	.long	2244853583                      ; 0x85cdbf4f
	.long	2648217758                      ; 0x9dd8989e
	.long	141742826                       ; 0x872d2ea
	.long	1605436472                      ; 0x5fb10438
	.long	745763543                       ; 0x2c7372d7
	.long	3275460028                      ; 0xc33b8dbc
	.long	3166960370                      ; 0xbcc3faf2
	;; [unrolled: 1-line block ×4, first 2 shown]
	.long	945054703                       ; 0x385463ef
	.long	998173049                       ; 0x3b7ee979
	.long	1014527437                      ; 0x3c7875cd
	.long	3424443612                      ; 0xcc1cdcdc
	.long	281835352                       ; 0x10cc7758
	.long	826817508                       ; 0x31483be4
	;; [unrolled: 1-line block ×3, first 2 shown]
	.long	2849967970                      ; 0xa9df0f62
	.long	3447294061                      ; 0xcd79886d
	;; [unrolled: 1-line block ×13, first 2 shown]
	.long	440045928                       ; 0x1a3a9168
	.long	1230555006                      ; 0x4958c77e
	.long	980805434                       ; 0x3a75e73a
	.long	2107958250                      ; 0x7da4e3ea
	;; [unrolled: 2-line block ×3, first 2 shown]
	.long	4283672024                      ; 0xff53a5d8
	.long	193019043                       ; 0xb813ca3
	.long	786035243                       ; 0x2ed9f22b
	.long	3002832578                      ; 0xb2fb96c2
	.long	3938336183                      ; 0xeabe3db7
	;; [unrolled: 1-line block ×6, first 2 shown]
	.long	83962845                        ; 0x5012bdd
	.long	1882902787                      ; 0x703ad103
	.long	3595687446                      ; 0xd651d616
	;; [unrolled: 1-line block ×9, first 2 shown]
	.long	538294991                       ; 0x2015bacf
	.long	353565565                       ; 0x1512fb7d
	.long	18133995                        ; 0x114b3eb
	.long	1719731406                      ; 0x668104ce
	.long	3311085516                      ; 0xc55b27cc
	;; [unrolled: 1-line block ×3, first 2 shown]
	.long	300367686                       ; 0x11e73f46
	.long	2628312935                      ; 0x9ca8df67
	.long	1151449661                      ; 0x44a1ba3d
	;; [unrolled: 1-line block ×4, first 2 shown]
	.long	535051857                       ; 0x1fe43e51
	.long	1623270973                      ; 0x60c1263d
	.long	2761151808                      ; 0xa493d540
	;; [unrolled: 1-line block ×3, first 2 shown]
	.long	317681607                       ; 0x12ef6fc7
	.long	2281427601                      ; 0x87fbd291
	.long	719748170                       ; 0x2ae67c4a
	.long	351452298                       ; 0x14f2bc8a
	.long	2191958596                      ; 0x82a6a244
	.long	4000232015                      ; 0xee6eb24f
	.long	335837771                       ; 0x14047a4b
	.long	4158081521                      ; 0xf7d749f1
	.long	3779404077                      ; 0xe145212d
	;; [unrolled: 1-line block ×7, first 2 shown]
	.long	748423654                       ; 0x2c9c09e6
	.long	1993082867                      ; 0x76cc07f3
	.long	451159852                       ; 0x1ae4272c
	.long	488781053                       ; 0x1d2234fd
	.long	2438982775                      ; 0x915fec77
	.long	2222815270                      ; 0x847d7826
	.long	543209242                       ; 0x2060b71a
	.long	1241562465                      ; 0x4a00bd61
	.long	2868868009                      ; 0xaaff73a9
	;; [unrolled: 1-line block ×11, first 2 shown]
	.long	705615044                       ; 0x2a0ed4c4
	.long	973368008                       ; 0x3a046ac8
	.long	1221885324                      ; 0x48d47d8c
	.long	2086331970                      ; 0x7c5ae642
	;; [unrolled: 1-line block ×3, first 2 shown]
	.long	280145759                       ; 0x10b2af5f
	.long	1795442656                      ; 0x6b0447e0
	.long	2984366093                      ; 0xb1e1d00d
	;; [unrolled: 1-line block ×3, first 2 shown]
	.long	323888669                       ; 0x134e261d
	.long	851950179                       ; 0x32c7ba63
	.long	4198638255                      ; 0xfa4222af
	.long	899943985                       ; 0x35a40e31
	.long	4087912561                      ; 0xf3a89871
	.long	2935341503                      ; 0xaef5c1bf
	;; [unrolled: 1-line block ×5, first 2 shown]
	.long	35779889                        ; 0x221f531
	.long	1076308344                      ; 0x40272978
	.long	4075444807                      ; 0xf2ea5a47
	.long	186174448                       ; 0xb18cbf0
	.long	3542284780                      ; 0xd322f9ec
	.long	660388677                       ; 0x275cbb45
	.long	2777400132                      ; 0xa58bc344
	.long	1092226205                      ; 0x411a0c9d
	;; [unrolled: 1-line block ×7, first 2 shown]
	.long	387339882                       ; 0x1716566a
	.long	2969593895                      ; 0xb1006827
	.long	3453134349                      ; 0xcdd2a60d
	;; [unrolled: 1-line block ×8, first 2 shown]
	.long	582454582                       ; 0x22b78d36
	.long	3364657275                      ; 0xc88c987b
	.long	3466973302                      ; 0xcea5d076
	.long	484564303                       ; 0x1ce1dd4f
	.long	1489261596                      ; 0x58c4541c
	.long	2270291560                      ; 0x8751e668
	;; [unrolled: 1-line block ×5, first 2 shown]
	.long	644797709                       ; 0x266ed50d
	.long	1213921542                      ; 0x485af906
	.long	99331403                        ; 0x5ebad4b
	.long	3027640949                      ; 0xb4762275
	.long	1137722852                      ; 0x43d045e4
	;; [unrolled: 1-line block ×4, first 2 shown]
	.long	931795812                       ; 0x378a1364
	.long	1075567424                      ; 0x401bdb40
	.long	28963219                        ; 0x1b9f193
	.long	1462245461                      ; 0x57281855
	.long	3781444706                      ; 0xe1644462
	.long	521233400                       ; 0x1f1163f8
	.long	1891915904                      ; 0x70c45880
	.long	3774338085                      ; 0xe0f7d425
	;; [unrolled: 1-line block ×9, first 2 shown]
	.long	911370656                       ; 0x365269a0
	.long	181884066                       ; 0xad754a2
	.long	1944539735                      ; 0x73e75257
	.long	290356444                       ; 0x114e7cdc
	.long	3598887471                      ; 0xd682aa2f
	.long	4236934380                      ; 0xfc8a7cec
	;; [unrolled: 1-line block ×3, first 2 shown]
	.long	457546246                       ; 0x1b459a06
	.long	4119337570                      ; 0xf5881a62
	.long	37700432                        ; 0x23f4350
	.long	655783844                       ; 0x271677a4
	.long	1423101410                      ; 0x54d2cde2
	.long	1693002969                      ; 0x64e92cd9
	;; [unrolled: 1-line block ×3, first 2 shown]
	.long	928748421                       ; 0x375b9385
	.long	4074128009                      ; 0xf2d64289
	.long	3081088543                      ; 0xb7a5ae1f
	;; [unrolled: 1-line block ×7, first 2 shown]
	.long	794709427                       ; 0x2f5e4db3
	.long	3363292346                      ; 0xc877c4ba
	.long	67786868                        ; 0x40a5874
	.long	3786597763                      ; 0xe1b2e583
	.long	380587236                       ; 0x16af4ce4
	.long	2345941620                      ; 0x8bd43a74
	.long	560232318                       ; 0x2164777e
	;; [unrolled: 2-line block ×3, first 2 shown]
	.long	1050293267                      ; 0x3e9a3413
	.long	2537845069                      ; 0x9744714d
	.long	1407302835                      ; 0x53e1bcb3
	.long	433399526                       ; 0x19d526e6
	.long	1083185007                      ; 0x4090176f
	.long	1893842085                      ; 0x70e1bca5
	;; [unrolled: 1-line block ×9, first 2 shown]
	.long	215905995                       ; 0xcde76cb
	.long	155811669                       ; 0x9497f55
	;; [unrolled: 1-line block ×3, first 2 shown]
	.long	2732631168                      ; 0xa2e0a480
	.long	1621659281                      ; 0x60a88e91
	.long	632403616                       ; 0x25b1b6a0
	.long	401165422                       ; 0x17e94c6e
	.long	2661074778                      ; 0x9e9cc75a
	.long	4156963191                      ; 0xf7c63977
	.long	3691812937                      ; 0xdc0c9849
	.long	3767271627                      ; 0xe08c00cb
	.long	2834948318                      ; 0xa8f9e0de
	.long	2877210497                      ; 0xab7ebf81
	.long	2420260153                      ; 0x90423d39
	.long	733172233                       ; 0x2bb35209
	.long	1771708940                      ; 0x699a220c
	.long	3102718549                      ; 0xb8efba55
	.long	2468707423                      ; 0x93257c5f
	.long	1857088312                      ; 0x6eb0eb38
	.long	3176535032                      ; 0xbd5613f8
	.long	1908570295                      ; 0x71c278b7
	.long	3966666208                      ; 0xec6e85e0
	;; [unrolled: 8-line block ×3, first 2 shown]
	.long	4049610348                      ; 0xf160266c
	.long	615820785                       ; 0x24b4adf1
	.long	3355718142                      ; 0xc80431fe
	.long	1734641780                      ; 0x67648874
	;; [unrolled: 1-line block ×3, first 2 shown]
	.long	274522187                       ; 0x105ce04b
	.long	3198436002                      ; 0xbea442a2
	.long	4077346785                      ; 0xf3075fe1
	;; [unrolled: 1-line block ×5, first 2 shown]
	.long	96583076                        ; 0x5c1bda4
	.long	2656389382                      ; 0x9e554906
	.long	1858181040                      ; 0x6ec197b0
	;; [unrolled: 1-line block ×4, first 2 shown]
	.long	349324012                       ; 0x14d242ec
	.long	973368008                       ; 0x3a046ac8
	.long	1221885324                      ; 0x48d47d8c
	.long	2086331970                      ; 0x7c5ae642
	;; [unrolled: 1-line block ×3, first 2 shown]
	.long	253685576                       ; 0xf1eef48
	.long	1795442656                      ; 0x6b0447e0
	.long	2984366093                      ; 0xb1e1d00d
	;; [unrolled: 1-line block ×3, first 2 shown]
	.long	323888669                       ; 0x134e261d
	.long	248935329                       ; 0xed673a1
	.long	4198638255                      ; 0xfa4222af
	.long	899943985                       ; 0x35a40e31
	.long	4087912561                      ; 0xf3a89871
	.long	2935341503                      ; 0xaef5c1bf
	;; [unrolled: 1-line block ×5, first 2 shown]
	.long	35779889                        ; 0x221f531
	.long	1076308344                      ; 0x40272978
	.long	1987715385                      ; 0x767a2139
	.long	186174448                       ; 0xb18cbf0
	.long	3542284780                      ; 0xd322f9ec
	.long	660388677                       ; 0x275cbb45
	.long	2777400132                      ; 0xa58bc344
	.long	2071022105                      ; 0x7b714a19
	;; [unrolled: 1-line block ×6, first 2 shown]
	.long	144370664                       ; 0x89aebe8
	.long	387339882                       ; 0x1716566a
	.long	2969593895                      ; 0xb1006827
	.long	3453134349                      ; 0xcdd2a60d
	;; [unrolled: 1-line block ×11, first 2 shown]
	.long	484564303                       ; 0x1ce1dd4f
	.long	1489261596                      ; 0x58c4541c
	.long	3405101812                      ; 0xcaf5baf4
	;; [unrolled: 1-line block ×5, first 2 shown]
	.long	644797709                       ; 0x266ed50d
	.long	2560273821                      ; 0x989aad9d
	.long	99331403                        ; 0x5ebad4b
	.long	3027640949                      ; 0xb4762275
	.long	1137722852                      ; 0x43d045e4
	;; [unrolled: 1-line block ×4, first 2 shown]
	.long	931795812                       ; 0x378a1364
	.long	1075567424                      ; 0x401bdb40
	.long	28963219                        ; 0x1b9f193
	.long	1462245461                      ; 0x57281855
	.long	1201513613                      ; 0x479da48d
	.long	521233400                       ; 0x1f1163f8
	.long	1891915904                      ; 0x70c45880
	.long	3774338085                      ; 0xe0f7d425
	.long	1635359313                      ; 0x61799a51
	.long	2815447944                      ; 0xa7d05388
	.long	4121073768                      ; 0xf5a29868
	.long	1045110727                      ; 0x3e4b1fc7
	.long	2822507066                      ; 0xa83c0a3a
	.long	1087914587                      ; 0x40d8425b
	.long	2485035329                      ; 0x941ea141
	.long	911370656                       ; 0x365269a0
	.long	181884066                       ; 0xad754a2
	.long	1944539735                      ; 0x73e75257
	.long	290356444                       ; 0x114e7cdc
	.long	2078819341                      ; 0x7be8440d
	.long	4236934380                      ; 0xfc8a7cec
	.long	3224468239                      ; 0xc0317b0f
	.long	457546246                       ; 0x1b459a06
	.long	4119337570                      ; 0xf5881a62
	.long	2666895496                      ; 0x9ef59888
	.long	655783844                       ; 0x271677a4
	.long	1423101410                      ; 0x54d2cde2
	.long	1693002969                      ; 0x64e92cd9
	;; [unrolled: 1-line block ×8, first 2 shown]
	.long	872453917                       ; 0x3400971d
	.long	2388253717                      ; 0x8e59dc15
	.long	4173455215                      ; 0xf8c1df6f
	.long	794709427                       ; 0x2f5e4db3
	.long	3363292346                      ; 0xc877c4ba
	.long	4188764388                      ; 0xf9ab78e4
	;; [unrolled: 1-line block ×3, first 2 shown]
	.long	380587236                       ; 0x16af4ce4
	.long	2345941620                      ; 0x8bd43a74
	.long	560232318                       ; 0x2164777e
	.long	625538006                       ; 0x2548f3d6
	;; [unrolled: 1-line block ×3, first 2 shown]
	.long	1050293267                      ; 0x3e9a3413
	.long	2537845069                      ; 0x9744714d
	;; [unrolled: 1-line block ×13, first 2 shown]
	.long	928582681                       ; 0x37590c19
	.long	155811669                       ; 0x9497f55
	.long	806806587                       ; 0x3016e43b
	.long	2732631168                      ; 0xa2e0a480
	.long	1621659281                      ; 0x60a88e91
	;; [unrolled: 1-line block ×3, first 2 shown]
	.long	401165422                       ; 0x17e94c6e
	.long	2661074778                      ; 0x9e9cc75a
	.long	4156963191                      ; 0xf7c63977
	;; [unrolled: 1-line block ×7, first 2 shown]
	.long	733172233                       ; 0x2bb35209
	.long	170239236                       ; 0xa25a504
	.long	3102718549                      ; 0xb8efba55
	.long	2468707423                      ; 0x93257c5f
	;; [unrolled: 1-line block ×6, first 2 shown]
	.long	605079895                       ; 0x2410c957
	.long	2982506620                      ; 0xb1c5707c
	.long	3721694730                      ; 0xddd48e0a
	;; [unrolled: 1-line block ×8, first 2 shown]
	.long	615820785                       ; 0x24b4adf1
	.long	3355718142                      ; 0xc80431fe
	.long	1734641780                      ; 0x67648874
	;; [unrolled: 1-line block ×9, first 2 shown]
	.long	96583076                        ; 0x5c1bda4
	.long	2656389382                      ; 0x9e554906
	.long	1858181040                      ; 0x6ec197b0
	;; [unrolled: 1-line block ×4, first 2 shown]
	.long	349324012                       ; 0x14d242ec
	.long	973368008                       ; 0x3a046ac8
	.long	1221885324                      ; 0x48d47d8c
	.long	2086331970                      ; 0x7c5ae642
	;; [unrolled: 1-line block ×3, first 2 shown]
	.long	253685576                       ; 0xf1eef48
	.long	1795442656                      ; 0x6b0447e0
	.long	2984366093                      ; 0xb1e1d00d
	;; [unrolled: 1-line block ×4, first 2 shown]
	.long	248935329                       ; 0xed673a1
	.long	4198638255                      ; 0xfa4222af
	.long	899943985                       ; 0x35a40e31
	.long	4087912561                      ; 0xf3a89871
	;; [unrolled: 2-line block ×3, first 2 shown]
	.long	3991058999                      ; 0xede2ba37
	.long	3547259355                      ; 0xd36ee1db
	.long	35779889                        ; 0x221f531
	.long	2393072396                      ; 0x8ea3630c
	.long	1987715385                      ; 0x767a2139
	.long	186174448                       ; 0xb18cbf0
	.long	3542284780                      ; 0xd322f9ec
	.long	660388677                       ; 0x275cbb45
	.long	3731857267                      ; 0xde6f9f73
	.long	2071022105                      ; 0x7b714a19
	;; [unrolled: 1-line block ×6, first 2 shown]
	.long	144370664                       ; 0x89aebe8
	.long	387339882                       ; 0x1716566a
	.long	2969593895                      ; 0xb1006827
	.long	3453134349                      ; 0xcdd2a60d
	;; [unrolled: 1-line block ×11, first 2 shown]
	.long	484564303                       ; 0x1ce1dd4f
	.long	2234542580                      ; 0x853069f4
	.long	3405101812                      ; 0xcaf5baf4
	;; [unrolled: 1-line block ×7, first 2 shown]
	.long	99331403                        ; 0x5ebad4b
	.long	3027640949                      ; 0xb4762275
	.long	1137722852                      ; 0x43d045e4
	;; [unrolled: 1-line block ×4, first 2 shown]
	.long	931795812                       ; 0x378a1364
	.long	1075567424                      ; 0x401bdb40
	.long	28963219                        ; 0x1b9f193
	.long	1659632304                      ; 0x62ebfab0
	.long	1201513613                      ; 0x479da48d
	.long	521233400                       ; 0x1f1163f8
	.long	1891915904                      ; 0x70c45880
	.long	3774338085                      ; 0xe0f7d425
	.long	763590809                       ; 0x2d837899
	.long	2815447944                      ; 0xa7d05388
	.long	4121073768                      ; 0xf5a29868
	;; [unrolled: 1-line block ×6, first 2 shown]
	.long	911370656                       ; 0x365269a0
	.long	181884066                       ; 0xad754a2
	.long	1944539735                      ; 0x73e75257
	.long	4104473807                      ; 0xf4a54ccf
	.long	2078819341                      ; 0x7be8440d
	.long	4236934380                      ; 0xfc8a7cec
	.long	3224468239                      ; 0xc0317b0f
	.long	457546246                       ; 0x1b459a06
	.long	1241850776                      ; 0x4a052398
	.long	2666895496                      ; 0x9ef59888
	.long	655783844                       ; 0x271677a4
	.long	1423101410                      ; 0x54d2cde2
	.long	1693002969                      ; 0x64e92cd9
	;; [unrolled: 1-line block ×7, first 2 shown]
	.long	218474476                       ; 0xd05a7ec
	.long	872453917                       ; 0x3400971d
	.long	2388253717                      ; 0x8e59dc15
	.long	4173455215                      ; 0xf8c1df6f
	.long	794709427                       ; 0x2f5e4db3
	.long	250328312                       ; 0xeebb4f8
	.long	4188764388                      ; 0xf9ab78e4
	.long	3786597763                      ; 0xe1b2e583
	.long	380587236                       ; 0x16af4ce4
	.long	2345941620                      ; 0x8bd43a74
	.long	1937652040                      ; 0x737e3948
	.long	625538006                       ; 0x2548f3d6
	.long	619747082                       ; 0x24f0970a
	.long	1050293267                      ; 0x3e9a3413
	.long	2537845069                      ; 0x9744714d
	;; [unrolled: 1-line block ×13, first 2 shown]
	.long	928582681                       ; 0x37590c19
	.long	155811669                       ; 0x9497f55
	;; [unrolled: 1-line block ×3, first 2 shown]
	.long	2732631168                      ; 0xa2e0a480
	.long	4046198728                      ; 0xf12c17c8
	;; [unrolled: 1-line block ×3, first 2 shown]
	.long	401165422                       ; 0x17e94c6e
	.long	2661074778                      ; 0x9e9cc75a
	.long	4156963191                      ; 0xf7c63977
	;; [unrolled: 1-line block ×7, first 2 shown]
	.long	326741418                       ; 0x1379adaa
	.long	170239236                       ; 0xa25a504
	.long	3102718549                      ; 0xb8efba55
	.long	2468707423                      ; 0x93257c5f
	;; [unrolled: 1-line block ×6, first 2 shown]
	.long	605079895                       ; 0x2410c957
	.long	2982506620                      ; 0xb1c5707c
	.long	2354705582                      ; 0x8c59f4ae
	.long	2066859537                      ; 0x7b31c611
	.long	3764975545                      ; 0xe068f7b9
	.long	3257514114                      ; 0xc229b882
	.long	1826578604                      ; 0x6cdf60ac
	.long	3017501686                      ; 0xb3db6bf6
	.long	2964604045                      ; 0xb0b4448d
	.long	615820785                       ; 0x24b4adf1
	.long	3355718142                      ; 0xc80431fe
	.long	1734641780                      ; 0x67648874
	;; [unrolled: 1-line block ×7, first 2 shown]
	.long	416470693                       ; 0x18d2d6a5
	.long	2612861218                      ; 0x9bbd1922
	.long	96583076                        ; 0x5c1bda4
	.long	2656389382                      ; 0x9e554906
	.long	1858181040                      ; 0x6ec197b0
	.long	3104217288                      ; 0xb90698c8
	.long	3639170895                      ; 0xd8e9574f
	.long	349324012                       ; 0x14d242ec
	.long	973368008                       ; 0x3a046ac8
	.long	1221885324                      ; 0x48d47d8c
	.long	601524567                       ; 0x23da8957
	.long	2258432445                      ; 0x869cf1bd
	;; [unrolled: 2-line block ×3, first 2 shown]
	.long	2984366093                      ; 0xb1e1d00d
	.long	1875491903                      ; 0x6fc9bc3f
	;; [unrolled: 1-line block ×3, first 2 shown]
	.long	248935329                       ; 0xed673a1
	.long	4198638255                      ; 0xfa4222af
	.long	899943985                       ; 0x35a40e31
	.long	2182697927                      ; 0x821953c7
	;; [unrolled: 2-line block ×3, first 2 shown]
	.long	3991058999                      ; 0xede2ba37
	.long	3547259355                      ; 0xd36ee1db
	;; [unrolled: 1-line block ×5, first 2 shown]
	.long	186174448                       ; 0xb18cbf0
	.long	3542284780                      ; 0xd322f9ec
	.long	2160848139                      ; 0x80cbed0b
	;; [unrolled: 1-line block ×8, first 2 shown]
	.long	144370664                       ; 0x89aebe8
	.long	387339882                       ; 0x1716566a
	.long	2969593895                      ; 0xb1006827
	.long	4240850623                      ; 0xfcc63ebf
	;; [unrolled: 1-line block ×6, first 2 shown]
	.long	322523795                       ; 0x13395293
	.long	2907069566                      ; 0xad465c7e
	.long	4064263898                      ; 0xf23fbeda
	;; [unrolled: 1-line block ×12, first 2 shown]
	.long	99331403                        ; 0x5ebad4b
	.long	3027640949                      ; 0xb4762275
	.long	859541953                       ; 0x333b91c1
	.long	4200786664                      ; 0xfa62eae8
	.long	1446442417                      ; 0x5636f5b1
	.long	931795812                       ; 0x378a1364
	.long	1075567424                      ; 0x401bdb40
	.long	1876635772                      ; 0x6fdb307c
	;; [unrolled: 1-line block ×4, first 2 shown]
	.long	521233400                       ; 0x1f1163f8
	.long	1891915904                      ; 0x70c45880
	.long	3949233865                      ; 0xeb6486c9
	.long	763590809                       ; 0x2d837899
	.long	2815447944                      ; 0xa7d05388
	.long	4121073768                      ; 0xf5a29868
	.long	1045110727                      ; 0x3e4b1fc7
	.long	2522258582                      ; 0x96569c96
	.long	4131040734                      ; 0xf63aadde
	.long	2485035329                      ; 0x941ea141
	.long	911370656                       ; 0x365269a0
	.long	181884066                       ; 0xad754a2
	.long	2467886009                      ; 0x9318f3b9
	.long	4104473807                      ; 0xf4a54ccf
	;; [unrolled: 1-line block ×5, first 2 shown]
	.long	603014155                       ; 0x23f1440b
	.long	1241850776                      ; 0x4a052398
	.long	2666895496                      ; 0x9ef59888
	.long	655783844                       ; 0x271677a4
	.long	1423101410                      ; 0x54d2cde2
	.long	673119756                       ; 0x281efe0c
	.long	2025898966                      ; 0x78c0c3d6
	.long	3595439673                      ; 0xd64e0e39
	;; [unrolled: 1-line block ×5, first 2 shown]
	.long	218474476                       ; 0xd05a7ec
	.long	872453917                       ; 0x3400971d
	.long	2388253717                      ; 0x8e59dc15
	.long	4173455215                      ; 0xf8c1df6f
	;; [unrolled: 1-line block ×3, first 2 shown]
	.long	250328312                       ; 0xeebb4f8
	.long	4188764388                      ; 0xf9ab78e4
	.long	3786597763                      ; 0xe1b2e583
	.long	380587236                       ; 0x16af4ce4
	.long	4292608797                      ; 0xffdc031d
	.long	1937652040                      ; 0x737e3948
	.long	625538006                       ; 0x2548f3d6
	.long	619747082                       ; 0x24f0970a
	.long	1050293267                      ; 0x3e9a3413
	.long	2989616803                      ; 0xb231eea3
	;; [unrolled: 1-line block ×13, first 2 shown]
	.long	928582681                       ; 0x37590c19
	.long	155811669                       ; 0x9497f55
	;; [unrolled: 1-line block ×3, first 2 shown]
	.long	2864892828                      ; 0xaac2cb9c
	.long	4046198728                      ; 0xf12c17c8
	;; [unrolled: 1-line block ×3, first 2 shown]
	.long	401165422                       ; 0x17e94c6e
	.long	2661074778                      ; 0x9e9cc75a
	.long	2946769376                      ; 0xafa421e0
	;; [unrolled: 1-line block ×7, first 2 shown]
	.long	326741418                       ; 0x1379adaa
	.long	170239236                       ; 0xa25a504
	.long	3102718549                      ; 0xb8efba55
	.long	2468707423                      ; 0x93257c5f
	;; [unrolled: 1-line block ×6, first 2 shown]
	.long	605079895                       ; 0x2410c957
	.long	2949706551                      ; 0xafd0f337
	.long	2354705582                      ; 0x8c59f4ae
	;; [unrolled: 1-line block ×5, first 2 shown]
	.long	495003693                       ; 0x1d81282d
	.long	3017501686                      ; 0xb3db6bf6
	.long	2964604045                      ; 0xb0b4448d
	.long	615820785                       ; 0x24b4adf1
	.long	3355718142                      ; 0xc80431fe
	.long	3799230297                      ; 0xe273a759
	;; [unrolled: 1-line block ×6, first 2 shown]
	.long	258363842                       ; 0xf6651c2
	.long	416470693                       ; 0x18d2d6a5
	.long	2612861218                      ; 0x9bbd1922
	.long	96583076                        ; 0x5c1bda4
	.long	2656389382                      ; 0x9e554906
	.long	2198085634                      ; 0x83042002
	;; [unrolled: 1-line block ×3, first 2 shown]
	.long	694172175                       ; 0x29603a0f
	.long	4194347563                      ; 0xfa00aa2b
	.long	2665732891                      ; 0x9ee3db1b
	;; [unrolled: 1-line block ×3, first 2 shown]
	.long	597070176                       ; 0x23969160
	.long	2749480905                      ; 0xa3e1bfc9
	.long	3937535348                      ; 0xeab20574
	;; [unrolled: 1-line block ×8, first 2 shown]
	.long	121765438                       ; 0x741fe3e
	.long	2129412744                      ; 0x7eec4288
	.long	2497437101                      ; 0x94dbddad
	;; [unrolled: 1-line block ×10, first 2 shown]
	.long	116121364                       ; 0x6ebdf14
	.long	1179473397                      ; 0x464d55f5
	.long	1497519022                      ; 0x594253ae
	.long	902569114                       ; 0x35cc1c9a
	.long	3840281863                      ; 0xe4e60d07
	.long	2783662797                      ; 0xa5eb52cd
	;; [unrolled: 1-line block ×8, first 2 shown]
	.long	446484563                       ; 0x1a9cd053
	.long	1133869192                      ; 0x43957888
	.long	2622178726                      ; 0x9c4b45a6
	;; [unrolled: 1-line block ×4, first 2 shown]
	.long	391734322                       ; 0x17596432
	.long	2089696890                      ; 0x7c8e3e7a
	.long	1304197030                      ; 0x4dbc77a6
	;; [unrolled: 1-line block ×5, first 2 shown]
	.long	448351665                       ; 0x1ab94db1
	.long	2724524045                      ; 0xa264f00d
	.long	1038754164                      ; 0x3dea2174
	.long	413586547                       ; 0x18a6d473
	.long	3107681687                      ; 0xb93b7597
	.long	1454664365                      ; 0x56b46aad
	;; [unrolled: 1-line block ×3, first 2 shown]
	.long	128440996                       ; 0x7a7daa4
	.long	565817989                       ; 0x21b9b285
	;; [unrolled: 1-line block ×3, first 2 shown]
	.long	1043863326                      ; 0x3e38171e
	.long	1747369107                      ; 0x6826bc93
	;; [unrolled: 1-line block ×3, first 2 shown]
	.long	172569313                       ; 0xa4932e1
	.long	2740699699                      ; 0xa35bc233
	.long	3417082503                      ; 0xcbac8a87
	;; [unrolled: 1-line block ×9, first 2 shown]
	.long	956763257                       ; 0x39070c79
	.long	3932467825                      ; 0xea64b271
	.long	1077337271                      ; 0x4036dcb7
	;; [unrolled: 1-line block ×5, first 2 shown]
	.long	236113740                       ; 0xe12cf4c
	.long	3116302858                      ; 0xb9bf020a
	.long	2730529598                      ; 0xa2c0933e
	;; [unrolled: 1-line block ×7, first 2 shown]
	.long	2852603                         ; 0x2b86fb
	.long	1682999535                      ; 0x645088ef
	.long	2764817908                      ; 0xa4cbc5f4
	;; [unrolled: 1-line block ×3, first 2 shown]
	.long	261936311                       ; 0xf9cd4b7
	.long	3122421452                      ; 0xba1c5ecc
	.long	1199382345                      ; 0x477d1f49
	;; [unrolled: 1-line block ×6, first 2 shown]
	.long	97847107                        ; 0x5d50743
	.long	1260892586                      ; 0x4b27b1aa
	.long	187242945                       ; 0xb2919c1
	.long	1286471861                      ; 0x4cae00b5
	.long	1763024967                      ; 0x6915a047
	.long	127723419                       ; 0x79ce79b
	.long	210606273                       ; 0xc8d98c1
	.long	228546401                       ; 0xd9f5761
	.long	3249879676                      ; 0xc1b53a7c
	.long	482069954                       ; 0x1cbbcdc2
	.long	383075106                       ; 0x16d54322
	.long	3263105259                      ; 0xc27f08eb
	.long	2242748676                      ; 0x85ada104
	;; [unrolled: 1-line block ×11, first 2 shown]
	.long	286336494                       ; 0x111125ee
	.long	3664225263                      ; 0xda67a3ef
	.long	502759060                       ; 0x1df77e94
	.long	777620620                       ; 0x2e598c8c
	;; [unrolled: 1-line block ×4, first 2 shown]
	.long	1866406173                      ; 0x6f3f191d
	.long	1235046453                      ; 0x499d5035
	;; [unrolled: 1-line block ×3, first 2 shown]
	.long	121814656                       ; 0x742be80
	.long	944976320                       ; 0x385331c0
	.long	1946494170                      ; 0x740524da
	.long	2548097575                      ; 0x97e0e227
	.long	415384946                       ; 0x18c24572
	.long	3934685646                      ; 0xea8689ce
	.long	1507032178                      ; 0x59d37c72
	;; [unrolled: 1-line block ×4, first 2 shown]
	.long	566005756                       ; 0x21bc8ffc
	.long	3118733139                      ; 0xb9e41753
	.long	2969075870                      ; 0xb0f8809e
	;; [unrolled: 1-line block ×5, first 2 shown]
	.long	904583023                       ; 0x35ead76f
	.long	3582075094                      ; 0xd58220d6
	.long	2298898632                      ; 0x890668c8
	;; [unrolled: 1-line block ×3, first 2 shown]
	.long	660351763                       ; 0x275c2b13
	.long	2548592542                      ; 0x97e86f9e
	.long	3009200751                      ; 0xb35cc26f
	.long	2116595110                      ; 0x7e28ada6
	.long	2623212287                      ; 0x9c5b0aff
	.long	4167133624                      ; 0xf86169b8
	.long	196759529                       ; 0xbba4fe9
	.long	3038645579                      ; 0xb51e0d4b
	.long	1769704552                      ; 0x697b8c68
	;; [unrolled: 1-line block ×6, first 2 shown]
	.long	51082211                        ; 0x30b73e3
	.long	3347503176                      ; 0xc786d848
	.long	3221768777                      ; 0xc0084a49
	;; [unrolled: 1-line block ×13, first 2 shown]
	.long	495459467                       ; 0x1d881c8b
	.long	1728339314                      ; 0x67045d72
	.long	2318396341                      ; 0x8a2febb5
	;; [unrolled: 1-line block ×12, first 2 shown]
	.long	41981087                        ; 0x280949f
	.long	2304966004                      ; 0x8962fd74
	.long	1342745986                      ; 0x5008ad82
	;; [unrolled: 1-line block ×4, first 2 shown]
	.long	752263676                       ; 0x2cd6a1fc
	.long	280905885                       ; 0x10be489d
	;; [unrolled: 1-line block ×3, first 2 shown]
	.long	4090689526                      ; 0xf3d2f7f6
	.long	2141254732                      ; 0x7fa0f44c
	;; [unrolled: 1-line block ×15, first 2 shown]
	.long	116832506                       ; 0x6f6b8fa
	.long	3097397897                      ; 0xb89e8a89
	.long	961156503                       ; 0x394a1597
	.long	1899056660                      ; 0x71314e14
	.long	1659173175                      ; 0x62e4f937
	;; [unrolled: 1-line block ×4, first 2 shown]
	.long	191259956                       ; 0xb666534
	.long	1735304734                      ; 0x676ea61e
	.long	4246751855                      ; 0xfd204a6f
	.long	4285601625                      ; 0xff711759
	.long	1495519933                      ; 0x5923d2bd
	.long	3398829761                      ; 0xca9606c1
	.long	997567482                       ; 0x3b75abfa
	.long	2277782972                      ; 0x87c435bc
	.long	1286922996                      ; 0x4cb4e2f4
	;; [unrolled: 1-line block ×3, first 2 shown]
	.long	15569196                        ; 0xed912c
	.long	191501283                       ; 0xb6a13e3
	.long	3916619528                      ; 0xe972df08
	.long	1552075789                      ; 0x5c82cc0d
	;; [unrolled: 1-line block ×10, first 2 shown]
	.long	186794491                       ; 0xb2241fb
	.long	3608172979                      ; 0xd71059b3
	.long	1991038123                      ; 0x76acd4ab
	.long	97515853                        ; 0x5cff94d
	.long	34341352                        ; 0x20c01e8
	.long	4163491231                      ; 0xf829d59f
	.long	1046079304                      ; 0x3e59e748
	;; [unrolled: 1-line block ×8, first 2 shown]
	.long	85024486                        ; 0x5115ee6
	.long	3019925981                      ; 0xb40069dd
	.long	3069231953                      ; 0xb6f0c351
	.long	1563669137                      ; 0x5d33b291
	.long	314080592                       ; 0x12b87d50
	.long	2943111861                      ; 0xaf6c52b5
	.long	2838243982                      ; 0xa92c2a8e
	.long	726216848                       ; 0x2b493090
	.long	2621853102                      ; 0x9c464dae
	.long	2355885175                      ; 0x8c6bf477
	;; [unrolled: 1-line block ×7, first 2 shown]
	.long	1632078                         ; 0x18e74e
	.long	1047440803                      ; 0x3e6eada3
	.long	1350377197                      ; 0x507d1eed
	;; [unrolled: 1-line block ×5, first 2 shown]
	.long	860259543                       ; 0x334684d7
	.long	1937956234                      ; 0x7382dd8a
	.long	2833820527                      ; 0xa8e8ab6f
	.long	329818923                       ; 0x13a8a32b
	.long	648489148                       ; 0x26a728bc
	.long	1791961202                      ; 0x6acf2872
	.long	1652322723                      ; 0x627c71a3
	;; [unrolled: 1-line block ×3, first 2 shown]
	.long	149629345                       ; 0x8eb29a1
	.long	2468961221                      ; 0x93295bc5
	.long	3711837973                      ; 0xdd3e2715
	;; [unrolled: 1-line block ×8, first 2 shown]
	.long	303393137                       ; 0x12156971
	.long	1346302239                      ; 0x503ef11f
	.long	1852307302                      ; 0x6e67f766
	.long	850106025                       ; 0x32ab96a9
	.long	2473124483                      ; 0x9368e283
	.long	2853497268                      ; 0xaa14e9b4
	;; [unrolled: 1-line block ×5, first 2 shown]
	.long	506925220                       ; 0x1e3710a4
	.long	3138967488                      ; 0xbb18d7c0
	.long	2973528682                      ; 0xb13c726a
	;; [unrolled: 1-line block ×18, first 2 shown]
	.long	87814045                        ; 0x53bef9d
	.long	878611347                       ; 0x345e8b93
	.long	812542698                       ; 0x306e6aea
	.long	51082211                        ; 0x30b73e3
	.long	3347503176                      ; 0xc786d848
	.long	3221768777                      ; 0xc0084a49
	;; [unrolled: 1-line block ×3, first 2 shown]
	.long	277257023                       ; 0x10869b3f
	.long	1716372908                      ; 0x664dc5ac
	.long	4132024211                      ; 0xf649af93
	;; [unrolled: 1-line block ×22, first 2 shown]
	.long	41981087                        ; 0x280949f
	.long	2304966004                      ; 0x8962fd74
	.long	484289311                       ; 0x1cddab1f
	.long	3425554050                      ; 0xcc2dce82
	.long	3537673465                      ; 0xd2dc9cf9
	.long	752263676                       ; 0x2cd6a1fc
	.long	280905885                       ; 0x10be489d
	;; [unrolled: 1-line block ×3, first 2 shown]
	.long	4090689526                      ; 0xf3d2f7f6
	.long	2141254732                      ; 0x7fa0f44c
	.long	1469491656                      ; 0x5796a9c8
	.long	2593100469                      ; 0x9a8f92b5
	.long	2089385540                      ; 0x7c897e44
	.long	3316809312                      ; 0xc5b27e60
	.long	1698245188                      ; 0x65392a44
	.long	1656427920                      ; 0x62bb1590
	.long	3081873338                      ; 0xb7b1a7ba
	.long	2750354264                      ; 0xa3ef1358
	.long	3850483440                      ; 0xe581b6f0
	.long	4081834419                      ; 0xf34bd9b3
	.long	1225164947                      ; 0x49068893
	.long	1244139942                      ; 0x4a2811a6
	.long	3432605739                      ; 0xcc99682b
	.long	116832506                       ; 0x6f6b8fa
	.long	3097397897                      ; 0xb89e8a89
	.long	961156503                       ; 0x394a1597
	.long	1899056660                      ; 0x71314e14
	.long	2234120716                      ; 0x8529fa0c
	;; [unrolled: 1-line block ×4, first 2 shown]
	.long	191259956                       ; 0xb666534
	.long	1735304734                      ; 0x676ea61e
	.long	125359575                       ; 0x778d5d7
	.long	4285601625                      ; 0xff711759
	.long	1495519933                      ; 0x5923d2bd
	;; [unrolled: 1-line block ×3, first 2 shown]
	.long	997567482                       ; 0x3b75abfa
	.long	4034254942                      ; 0xf075d85e
	.long	1286922996                      ; 0x4cb4e2f4
	;; [unrolled: 1-line block ×3, first 2 shown]
	.long	15569196                        ; 0xed912c
	.long	191501283                       ; 0xb6a13e3
	.long	2090684174                      ; 0x7c9d4f0e
	.long	1552075789                      ; 0x5c82cc0d
	;; [unrolled: 1-line block ×13, first 2 shown]
	.long	97515853                        ; 0x5cff94d
	.long	34341352                        ; 0x20c01e8
	.long	2634732952                      ; 0x9d0ad598
	.long	1046079304                      ; 0x3e59e748
	;; [unrolled: 1-line block ×8, first 2 shown]
	.long	85024486                        ; 0x5115ee6
	.long	3019925981                      ; 0xb40069dd
	.long	3229477751                      ; 0xc07deb77
	;; [unrolled: 1-line block ×3, first 2 shown]
	.long	314080592                       ; 0x12b87d50
	.long	2943111861                      ; 0xaf6c52b5
	.long	2838243982                      ; 0xa92c2a8e
	;; [unrolled: 1-line block ×10, first 2 shown]
	.long	1632078                         ; 0x18e74e
	.long	1047440803                      ; 0x3e6eada3
	.long	623898652                       ; 0x252ff01c
	.long	2490578842                      ; 0x9473379a
	.long	2366345698                      ; 0x8d0b91e2
	;; [unrolled: 1-line block ×3, first 2 shown]
	.long	860259543                       ; 0x334684d7
	.long	2097114662                      ; 0x7cff6e26
	.long	2833820527                      ; 0xa8e8ab6f
	.long	329818923                       ; 0x13a8a32b
	.long	648489148                       ; 0x26a728bc
	.long	1791961202                      ; 0x6acf2872
	.long	1730000077                      ; 0x671db4cd
	;; [unrolled: 1-line block ×3, first 2 shown]
	.long	149629345                       ; 0x8eb29a1
	.long	2468961221                      ; 0x93295bc5
	.long	3711837973                      ; 0xdd3e2715
	;; [unrolled: 1-line block ×8, first 2 shown]
	.long	303393137                       ; 0x12156971
	.long	1346302239                      ; 0x503ef11f
	.long	1852307302                      ; 0x6e67f766
	.long	850106025                       ; 0x32ab96a9
	.long	3523245944                      ; 0xd2007778
	.long	2853497268                      ; 0xaa14e9b4
	;; [unrolled: 1-line block ×15, first 2 shown]
	.long	608940900                       ; 0x244bb364
	.long	3870707795                      ; 0xe6b65053
	.long	4141538580                      ; 0xf6dadd14
	;; [unrolled: 1-line block ×4, first 2 shown]
	.long	728626935                       ; 0x2b6df6f7
	.long	3689191993                      ; 0xdbe49a39
	.long	1933431212                      ; 0x733dd1ac
	;; [unrolled: 1-line block ×3, first 2 shown]
	.long	87814045                        ; 0x53bef9d
	.long	646732047                       ; 0x268c590f
	.long	812542698                       ; 0x306e6aea
	.long	51082211                        ; 0x30b73e3
	.long	3347503176                      ; 0xc786d848
	.long	3221768777                      ; 0xc0084a49
	;; [unrolled: 1-line block ×3, first 2 shown]
	.long	277257023                       ; 0x10869b3f
	.long	1716372908                      ; 0x664dc5ac
	.long	4132024211                      ; 0xf649af93
	;; [unrolled: 1-line block ×22, first 2 shown]
	.long	41981087                        ; 0x280949f
	.long	2348931916                      ; 0x8c01db4c
	.long	484289311                       ; 0x1cddab1f
	.long	3425554050                      ; 0xcc2dce82
	.long	3537673465                      ; 0xd2dc9cf9
	.long	752263676                       ; 0x2cd6a1fc
	.long	3169550883                      ; 0xbceb8223
	.long	657028134                       ; 0x27297426
	.long	4090689526                      ; 0xf3d2f7f6
	.long	2141254732                      ; 0x7fa0f44c
	;; [unrolled: 1-line block ×15, first 2 shown]
	.long	116832506                       ; 0x6f6b8fa
	.long	3097397897                      ; 0xb89e8a89
	.long	961156503                       ; 0x394a1597
	.long	1581804167                      ; 0x5e486a87
	.long	2234120716                      ; 0x8529fa0c
	;; [unrolled: 1-line block ×4, first 2 shown]
	.long	191259956                       ; 0xb666534
	.long	4113708001                      ; 0xf53233e1
	.long	125359575                       ; 0x778d5d7
	.long	4285601625                      ; 0xff711759
	.long	1495519933                      ; 0x5923d2bd
	.long	3398829761                      ; 0xca9606c1
	.long	3473435310                      ; 0xcf086aae
	.long	4034254942                      ; 0xf075d85e
	.long	1286922996                      ; 0x4cb4e2f4
	.long	3120709698                      ; 0xba024042
	.long	15569196                        ; 0xed912c
	.long	3122200488                      ; 0xba18ffa8
	.long	2090684174                      ; 0x7c9d4f0e
	;; [unrolled: 1-line block ×10, first 2 shown]
	.long	954000150                       ; 0x38dce316
	.long	2464533361                      ; 0x92e5cb71
	.long	3608172979                      ; 0xd71059b3
	;; [unrolled: 1-line block ×3, first 2 shown]
	.long	97515853                        ; 0x5cff94d
	.long	3832321348                      ; 0xe46c9544
	.long	2634732952                      ; 0x9d0ad598
	;; [unrolled: 1-line block ×9, first 2 shown]
	.long	85024486                        ; 0x5115ee6
	.long	1080403742                      ; 0x4065a71e
	.long	3229477751                      ; 0xc07deb77
	;; [unrolled: 1-line block ×3, first 2 shown]
	.long	314080592                       ; 0x12b87d50
	.long	2943111861                      ; 0xaf6c52b5
	.long	3357655593                      ; 0xc821c229
	;; [unrolled: 1-line block ×10, first 2 shown]
	.long	1632078                         ; 0x18e74e
	.long	4263556325                      ; 0xfe20b4e5
	.long	623898652                       ; 0x252ff01c
	.long	2490578842                      ; 0x9473379a
	.long	2366345698                      ; 0x8d0b91e2
	;; [unrolled: 1-line block ×6, first 2 shown]
	.long	329818923                       ; 0x13a8a32b
	.long	648489148                       ; 0x26a728bc
	;; [unrolled: 1-line block ×3, first 2 shown]
	.long	1730000077                      ; 0x671db4cd
	.long	1513419073                      ; 0x5a34f141
	.long	149629345                       ; 0x8eb29a1
	.long	2468961221                      ; 0x93295bc5
	.long	3766709284                      ; 0xe0836c24
	;; [unrolled: 1-line block ×8, first 2 shown]
	.long	303393137                       ; 0x12156971
	.long	1346302239                      ; 0x503ef11f
	.long	1852307302                      ; 0x6e67f766
	.long	579487408                       ; 0x228a46b0
	.long	3523245944                      ; 0xd2007778
	.long	2853497268                      ; 0xaa14e9b4
	;; [unrolled: 1-line block ×15, first 2 shown]
	.long	608940900                       ; 0x244bb364
	.long	3870707795                      ; 0xe6b65053
	.long	4141538580                      ; 0xf6dadd14
	;; [unrolled: 1-line block ×4, first 2 shown]
	.long	728626935                       ; 0x2b6df6f7
	.long	3689191993                      ; 0xdbe49a39
	.long	1933431212                      ; 0x733dd1ac
	;; [unrolled: 1-line block ×4, first 2 shown]
	.long	646732047                       ; 0x268c590f
	.long	812542698                       ; 0x306e6aea
	.long	51082211                        ; 0x30b73e3
	.long	3347503176                      ; 0xc786d848
	.long	3622107037                      ; 0xd7e4f79d
	;; [unrolled: 1-line block ×3, first 2 shown]
	.long	277257023                       ; 0x10869b3f
	.long	1716372908                      ; 0x664dc5ac
	.long	4132024211                      ; 0xf649af93
	;; [unrolled: 1-line block ×12, first 2 shown]
	.long	580990822                       ; 0x22a13766
	.long	2279941522                      ; 0x87e52592
	.long	2530282967                      ; 0x96d10dd7
	;; [unrolled: 1-line block ×11, first 2 shown]
	.long	484289311                       ; 0x1cddab1f
	.long	3425554050                      ; 0xcc2dce82
	.long	3537673465                      ; 0xd2dc9cf9
	;; [unrolled: 1-line block ×4, first 2 shown]
	.long	657028134                       ; 0x27297426
	.long	4090689526                      ; 0xf3d2f7f6
	.long	2141254732                      ; 0x7fa0f44c
	;; [unrolled: 1-line block ×12, first 2 shown]
	.long	108425527                       ; 0x6767137
	.long	2422106046                      ; 0x905e67be
	.long	3432605739                      ; 0xcc99682b
	.long	116832506                       ; 0x6f6b8fa
	.long	3097397897                      ; 0xb89e8a89
	.long	3902994002                      ; 0xe8a2f652
	;; [unrolled: 1-line block ×8, first 2 shown]
	.long	125359575                       ; 0x778d5d7
	.long	4285601625                      ; 0xff711759
	.long	1495519933                      ; 0x5923d2bd
	;; [unrolled: 1-line block ×18, first 2 shown]
	.long	954000150                       ; 0x38dce316
	.long	2464533361                      ; 0x92e5cb71
	.long	3608172979                      ; 0xd71059b3
	;; [unrolled: 1-line block ×17, first 2 shown]
	.long	314080592                       ; 0x12b87d50
	.long	1737897403                      ; 0x679635bb
	.long	3357655593                      ; 0xc821c229
	;; [unrolled: 1-line block ×5, first 2 shown]
	.long	57997639                        ; 0x374f947
	.long	3722440291                      ; 0xdddfee63
	.long	1615234696                      ; 0x60468688
	.long	3626558972                      ; 0xd828e5fc
	.long	4290084148                      ; 0xffb57d34
	.long	3703113369                      ; 0xdcb90699
	.long	4263556325                      ; 0xfe20b4e5
	.long	623898652                       ; 0x252ff01c
	.long	2490578842                      ; 0x9473379a
	.long	2366345698                      ; 0x8d0b91e2
	.long	73788443                        ; 0x465ec1b
	.long	3623136669                      ; 0xd7f4ad9d
	.long	2097114662                      ; 0x7cff6e26
	;; [unrolled: 1-line block ×3, first 2 shown]
	.long	329818923                       ; 0x13a8a32b
	.long	253042650                       ; 0xf151fda
	;; [unrolled: 1-line block ×3, first 2 shown]
	.long	1730000077                      ; 0x671db4cd
	.long	1513419073                      ; 0x5a34f141
	.long	149629345                       ; 0x8eb29a1
	.long	4248302934                      ; 0xfd37f556
	.long	3766709284                      ; 0xe0836c24
	.long	3255238414                      ; 0xc206ff0e
	.long	1434755773                      ; 0x5584a2bd
	.long	3808719305                      ; 0xe30471c9
	.long	3698431827                      ; 0xdc719753
	.long	1958651003                      ; 0x74bea47b
	.long	1635042488                      ; 0x6174c4b8
	.long	303393137                       ; 0x12156971
	.long	1346302239                      ; 0x503ef11f
	.long	3872433842                      ; 0xe6d0a6b2
	.long	579487408                       ; 0x228a46b0
	.long	3523245944                      ; 0xd2007778
	.long	2853497268                      ; 0xaa14e9b4
	;; [unrolled: 1-line block ×15, first 2 shown]
	.long	608940900                       ; 0x244bb364
	.long	3870707795                      ; 0xe6b65053
	.long	4141538580                      ; 0xf6dadd14
	;; [unrolled: 1-line block ×4, first 2 shown]
	.long	728626935                       ; 0x2b6df6f7
	.long	3689191993                      ; 0xdbe49a39
	.long	1933431212                      ; 0x733dd1ac
	;; [unrolled: 1-line block ×8, first 2 shown]
	.long	947907377                       ; 0x387feb31
	.long	3772487849                      ; 0xe0db98a9
	.long	2002599877                      ; 0x775d3fc5
	;; [unrolled: 1-line block ×7, first 2 shown]
	.long	255142205                       ; 0xf35293d
	.long	751273749                       ; 0x2cc78715
	.long	4049362748                      ; 0xf15c5f3c
	.long	1434168014                      ; 0x557baace
	;; [unrolled: 1-line block ×3, first 2 shown]
	.long	6910933                         ; 0x6973d5
	.long	1352778547                      ; 0x50a1c333
	.long	2413649875                      ; 0x8fdd5fd3
	;; [unrolled: 1-line block ×3, first 2 shown]
	.long	484497407                       ; 0x1ce0d7ff
	.long	522555106                       ; 0x1f258ee2
	.long	1848417180                      ; 0x6e2c9b9c
	.long	3001805499                      ; 0xb2ebeabb
	;; [unrolled: 1-line block ×13, first 2 shown]
	.long	472918932                       ; 0x1c302b94
	.long	3835854229                      ; 0xe4a27d95
	.long	4259163014                      ; 0xfdddab86
	.long	4103952359                      ; 0xf49d57e7
	.long	1989474190                      ; 0x7694f78e
	.long	1792448078                      ; 0x6ad6964e
	.long	1517735224                      ; 0x5a76cd38
	.long	1958036884                      ; 0x74b54594
	.long	2277922531                      ; 0x87c656e3
	.long	2856192348                      ; 0xaa3e095c
	.long	4294188732                      ; 0xfff41ebc
	.long	2674247971                      ; 0x9f65c923
	.long	643649427                       ; 0x265d4f93
	.long	3847742408                      ; 0xe557e3c8
	.long	1512435795                      ; 0x5a25f053
	.long	4236693554                      ; 0xfc86d032
	.long	1749045838                      ; 0x6840524e
	.long	397093640                       ; 0x17ab2b08
	.long	2940663643                      ; 0xaf46f75b
	.long	4156440725                      ; 0xf7be4095
	.long	188785143                       ; 0xb40a1f7
	.long	3894740830                      ; 0xe825075e
	.long	897618321                       ; 0x35809191
	.long	3333498692                      ; 0xc6b12744
	.long	1623924612                      ; 0x60cb1f84
	;; [unrolled: 1-line block ×10, first 2 shown]
	.long	791442469                       ; 0x2f2c7425
	.long	1782204490                      ; 0x6a3a484a
	.long	2452634246                      ; 0x92303a86
	;; [unrolled: 1-line block ×4, first 2 shown]
	.long	112254281                       ; 0x6b0dd49
	.long	2044140398                      ; 0x79d71b6e
	.long	2479591984                      ; 0x93cb9230
	.long	3293701920                      ; 0xc451e720
	.long	1062335151                      ; 0x3f51f2af
	.long	1397230369                      ; 0x53480b21
	.long	2460086085                      ; 0x92a1ef45
	.long	2412349474                      ; 0x8fc98822
	.long	1252633202                      ; 0x4aa9aa72
	.long	3704541545                      ; 0xdcced169
	.long	2132499200                      ; 0x7f1b5b00
	.long	2202058121                      ; 0x8340bd89
	.long	1981543691                      ; 0x761bf50b
	.long	2683673516                      ; 0x9ff59bac
	.long	1198109770                      ; 0x4769b44a
	.long	4279157703                      ; 0xff0ec3c7
	.long	2224504258                      ; 0x84973dc2
	.long	2188868731                      ; 0x82777c7b
	.long	769314834                       ; 0x2ddad012
	.long	601313429                       ; 0x23d75095
	.long	3595357440                      ; 0xd64ccd00
	.long	561383123                       ; 0x217606d3
	.long	3444949507                      ; 0xcd55c203
	.long	2127327734                      ; 0x7ecc71f6
	;; [unrolled: 1-line block ×5, first 2 shown]
	.long	309361635                       ; 0x12707be3
	.long	2377703815                      ; 0x8db8e187
	.long	1109219406                      ; 0x421d584e
	.long	406287309                       ; 0x183773cd
	.long	1750179098                      ; 0x68519d1a
	.long	3619129839                      ; 0xd7b789ef
	.long	937928728                       ; 0x37e7a818
	.long	884423945                       ; 0x34b73d09
	;; [unrolled: 1-line block ×3, first 2 shown]
	.long	4173634172                      ; 0xf8c49a7c
	.long	1492070114                      ; 0x58ef2ee2
	;; [unrolled: 1-line block ×5, first 2 shown]
	.long	744370087                       ; 0x2c5e2fa7
	.long	4004118884                      ; 0xeeaa0164
	.long	2199449568                      ; 0x8318efe0
	.long	879458863                       ; 0x346b7a2f
	.long	3197725005                      ; 0xbe99694d
	.long	3590586547                      ; 0xd60400b3
	.long	59693002                        ; 0x38ed7ca
	.long	3614114662                      ; 0xd76b0366
	.long	1499386564                      ; 0x595ed2c4
	.long	2914582708                      ; 0xadb900b4
	.long	3751842429                      ; 0xdfa0927d
	.long	947438603                       ; 0x3878c40b
	.long	1986129491                      ; 0x7661ee53
	.long	3747112289                      ; 0xdf586561
	.long	833777768                       ; 0x31b27068
	.long	2231649410                      ; 0x85044482
	.long	1841607849                      ; 0x6dc4b4a9
	;; [unrolled: 1-line block ×12, first 2 shown]
	.long	902427181                       ; 0x35c9f22d
	.long	164636454                       ; 0x9d02726
	.long	2459631341                      ; 0x929afeed
	.long	635349368                       ; 0x25dea978
	.long	463309029                       ; 0x1b9d88e5
	.long	1409367654                      ; 0x54013e66
	.long	849052250                       ; 0x329b825a
	.long	3221786769                      ; 0xc0089091
	.long	2310288531                      ; 0x89b43493
	.long	2919204855                      ; 0xadff87f7
	.long	1263130532                      ; 0x4b49d7a4
	.long	1215722704                      ; 0x487674d0
	.long	3497322658                      ; 0xd074e8a2
	.long	2840687222                      ; 0xa9517276
	.long	2185004161                      ; 0x823c8481
	.long	1507335864                      ; 0x59d81eb8
	.long	2052557448                      ; 0x7a578a88
	.long	2879065999                      ; 0xab9b0f8f
	.long	22933757                        ; 0x15df0fd
	.long	2160014758                      ; 0x80bf35a6
	.long	3736092460                      ; 0xdeb03f2c
	;; [unrolled: 1-line block ×5, first 2 shown]
	.long	309323868                       ; 0x126fe85c
	.long	3452852627                      ; 0xcdce5993
	.long	3424626316                      ; 0xcc1fa68c
	.long	545651740                       ; 0x2085fc1c
	.long	1935764720                      ; 0x73616cf0
	.long	2349926457                      ; 0x8c110839
	;; [unrolled: 1-line block ×3, first 2 shown]
	.long	862046434                       ; 0x3361c8e2
	.long	167198649                       ; 0x9f73fb9
	;; [unrolled: 1-line block ×3, first 2 shown]
	.long	1145807303                      ; 0x444ba1c7
	.long	1571276102                      ; 0x5da7c546
	.long	883549156                       ; 0x34a9e3e4
	.long	907871968                       ; 0x361d06e0
	;; [unrolled: 1-line block ×4, first 2 shown]
	.long	3795356864                      ; 0xe2388cc0
	.long	3306095271                      ; 0xc50f02a7
	;; [unrolled: 1-line block ×3, first 2 shown]
	.long	621126888                       ; 0x2505a4e8
	.long	1838613968                      ; 0x6d9705d0
	.long	2054107827                      ; 0x7a6f32b3
	;; [unrolled: 1-line block ×3, first 2 shown]
	.long	454879400                       ; 0x1b1ce8a8
	.long	1952849106                      ; 0x74661cd2
	.long	1907701866                      ; 0x71b5386a
	;; [unrolled: 1-line block ×17, first 2 shown]
	.long	310692416                       ; 0x1284ca40
	.long	384880529                       ; 0x16f0cf91
	.long	3497622676                      ; 0xd0797c94
	.long	1024664651                      ; 0x3d13244b
	.long	1541456182                      ; 0x5be0c136
	.long	1904670217                      ; 0x7186f609
	.long	1008618602                      ; 0x3c1e4c6a
	.long	2816673160                      ; 0xa7e30588
	.long	684112698                       ; 0x28c6bb3a
	.long	3332034744                      ; 0xc69ad0b8
	.long	3646613828                      ; 0xd95ae944
	.long	962627614                       ; 0x3960881e
	.long	3072103948                      ; 0xb71c960c
	.long	3713153075                      ; 0xdd523833
	.long	476323310                       ; 0x1c641dee
	.long	3243124597                      ; 0xc14e2775
	.long	126319837                       ; 0x7877cdd
	;; [unrolled: 2-line block ×3, first 2 shown]
	.long	2142696490                      ; 0x7fb6f42a
	.long	3442722759                      ; 0xcd33c7c7
	;; [unrolled: 1-line block ×3, first 2 shown]
	.long	426191419                       ; 0x19672a3b
	.long	3157759186                      ; 0xbc3794d2
	.long	100239709                       ; 0x5f9895d
	.long	494534049                       ; 0x1d79fda1
	.long	1259677734                      ; 0x4b152826
	.long	2889209278                      ; 0xac35d5be
	;; [unrolled: 1-line block ×12, first 2 shown]
	.long	260248338                       ; 0xf831312
	.long	2570702480                      ; 0x9939ce90
	.long	2067671015                      ; 0x7b3e27e7
	;; [unrolled: 1-line block ×3, first 2 shown]
	.long	361311552                       ; 0x15892d40
	.long	2123195373                      ; 0x7e8d63ed
	.long	2825457193                      ; 0xa8690e29
	;; [unrolled: 1-line block ×3, first 2 shown]
	.long	507483626                       ; 0x1e3f95ea
	.long	1201669979                      ; 0x47a0075b
	.long	910763802                       ; 0x3649271a
	.long	4158584821                      ; 0xf7def7f5
	.long	3116016424                      ; 0xb9baa328
	;; [unrolled: 1-line block ×7, first 2 shown]
	.long	681020485                       ; 0x28978c45
	.long	4044713962                      ; 0xf1156fea
	.long	2443109893                      ; 0x919ee605
	.long	129994063                       ; 0x7bf8d4f
	.long	1710251126                      ; 0x65f05c76
	.long	820410567                       ; 0x30e678c7
	.long	601527649                       ; 0x23da9561
	.long	1007603132                      ; 0x3c0ecdbc
	.long	2096580480                      ; 0x7cf74780
	;; [unrolled: 1-line block ×5, first 2 shown]
	.long	960265104                       ; 0x393c7b90
	.long	527990410                       ; 0x1f787e8a
	.long	1572910026                      ; 0x5dc0b3ca
	.long	1106822080                      ; 0x41f8c3c0
	;; [unrolled: 1-line block ×6, first 2 shown]
	.long	393081842                       ; 0x176df3f2
	.long	3826516196                      ; 0xe41400e4
	.long	2576499701                      ; 0x999243f5
	;; [unrolled: 1-line block ×7, first 2 shown]
	.long	858751984                       ; 0x332f83f0
	.long	3735375571                      ; 0xdea54ed3
	.long	496972334                       ; 0x1d9f322e
	.long	830265621                       ; 0x317cd915
	.long	1355757111                      ; 0x50cf3637
	.long	909444416                       ; 0x36350540
	.long	1337622259                      ; 0x4fba7ef3
	.long	2616327935                      ; 0x9bf1feff
	;; [unrolled: 1-line block ×5, first 2 shown]
	.long	796316592                       ; 0x2f76d3b0
	.long	1893005585                      ; 0x70d4f911
	.long	3958551664                      ; 0xebf2b470
	;; [unrolled: 1-line block ×12, first 2 shown]
	.long	505718946                       ; 0x1e24a8a2
	.long	3755903648                      ; 0xdfde8aa0
	.long	3351468604                      ; 0xc7c35a3c
	;; [unrolled: 1-line block ×5, first 2 shown]
	.long	22933757                        ; 0x15df0fd
	.long	2160014758                      ; 0x80bf35a6
	.long	2321387515                      ; 0x8a5d8ffb
	;; [unrolled: 1-line block ×5, first 2 shown]
	.long	309323868                       ; 0x126fe85c
	.long	1850700415                      ; 0x6e4f727f
	.long	3424626316                      ; 0xcc1fa68c
	.long	545651740                       ; 0x2085fc1c
	.long	1935764720                      ; 0x73616cf0
	.long	2349926457                      ; 0x8c110839
	.long	979047283                       ; 0x3a5b1373
	.long	862046434                       ; 0x3361c8e2
	;; [unrolled: 1-line block ×4, first 2 shown]
	.long	1145807303                      ; 0x444ba1c7
	.long	4201635137                      ; 0xfa6fdd41
	.long	883549156                       ; 0x34a9e3e4
	.long	907871968                       ; 0x361d06e0
	;; [unrolled: 1-line block ×4, first 2 shown]
	.long	2637527083                      ; 0x9d35782b
	.long	3306095271                      ; 0xc50f02a7
	;; [unrolled: 1-line block ×3, first 2 shown]
	.long	621126888                       ; 0x2505a4e8
	.long	1838613968                      ; 0x6d9705d0
	.long	117966344                       ; 0x7080608
	.long	1785040579                      ; 0x6a658ec3
	.long	454879400                       ; 0x1b1ce8a8
	.long	1952849106                      ; 0x74661cd2
	.long	1907701866                      ; 0x71b5386a
	.long	733998186                       ; 0x2bbfec6a
	.long	1623968604                      ; 0x60cbcb5c
	.long	2997422000                      ; 0xb2a907b0
	;; [unrolled: 1-line block ×15, first 2 shown]
	.long	384880529                       ; 0x16f0cf91
	.long	3497622676                      ; 0xd0797c94
	.long	1024664651                      ; 0x3d13244b
	;; [unrolled: 1-line block ×3, first 2 shown]
	.long	618916624                       ; 0x24e3eb10
	.long	1008618602                      ; 0x3c1e4c6a
	.long	2816673160                      ; 0xa7e30588
	.long	684112698                       ; 0x28c6bb3a
	.long	3332034744                      ; 0xc69ad0b8
	.long	3340690804                      ; 0xc71ee574
	;; [unrolled: 3-line block ×3, first 2 shown]
	.long	476323310                       ; 0x1c641dee
	.long	902990902                       ; 0x35d28c36
	;; [unrolled: 1-line block ×3, first 2 shown]
	.long	2155412848                      ; 0x8078fd70
	.long	228580793                       ; 0xd9fddb9
	.long	2142696490                      ; 0x7fb6f42a
	.long	4254301999                      ; 0xfd937f2f
	;; [unrolled: 1-line block ×3, first 2 shown]
	.long	426191419                       ; 0x19672a3b
	.long	3157759186                      ; 0xbc3794d2
	.long	100239709                       ; 0x5f9895d
	.long	3216403640                      ; 0xbfb66cb8
	.long	1259677734                      ; 0x4b152826
	;; [unrolled: 1-line block ×13, first 2 shown]
	.long	260248338                       ; 0xf831312
	.long	2570702480                      ; 0x9939ce90
	.long	1879451653                      ; 0x70062805
	;; [unrolled: 1-line block ×3, first 2 shown]
	.long	361311552                       ; 0x15892d40
	.long	2123195373                      ; 0x7e8d63ed
	.long	2825457193                      ; 0xa8690e29
	.long	341920668                       ; 0x14614b9c
	.long	507483626                       ; 0x1e3f95ea
	.long	1201669979                      ; 0x47a0075b
	.long	910763802                       ; 0x3649271a
	.long	4158584821                      ; 0xf7def7f5
	.long	3748705813                      ; 0xdf70b615
	;; [unrolled: 1-line block ×7, first 2 shown]
	.long	681020485                       ; 0x28978c45
	.long	4044713962                      ; 0xf1156fea
	.long	2443109893                      ; 0x919ee605
	.long	129994063                       ; 0x7bf8d4f
	.long	2578353596                      ; 0x99ae8dbc
	.long	820410567                       ; 0x30e678c7
	.long	601527649                       ; 0x23da9561
	.long	1007603132                      ; 0x3c0ecdbc
	.long	2096580480                      ; 0x7cf74780
	.long	3155251071                      ; 0xbc114f7f
	.long	1984297765                      ; 0x7645fb25
	.long	1888157243                      ; 0x708afe3b
	.long	960265104                       ; 0x393c7b90
	.long	527990410                       ; 0x1f787e8a
	.long	2548692624                      ; 0x97e9f690
	.long	1106822080                      ; 0x41f8c3c0
	.long	1472807331                      ; 0x57c941a3
	.long	2465011897                      ; 0x92ed18b9
	;; [unrolled: 7-line block ×3, first 2 shown]
	.long	2188282304                      ; 0x826e89c0
	.long	2949056849                      ; 0xafc70951
	;; [unrolled: 1-line block ×3, first 2 shown]
	.long	858751984                       ; 0x332f83f0
	.long	191805249                       ; 0xb6eb741
	;; [unrolled: 1-line block ×4, first 2 shown]
	.long	1355757111                      ; 0x50cf3637
	.long	909444416                       ; 0x36350540
	.long	396738554                       ; 0x17a5bffa
	.long	2616327935                      ; 0x9bf1feff
	.long	2337227347                      ; 0x8b4f4253
	;; [unrolled: 1-line block ×17, first 2 shown]
	.long	505718946                       ; 0x1e24a8a2
	.long	3755903648                      ; 0xdfde8aa0
	.long	1770588062                      ; 0x6989079e
	;; [unrolled: 1-line block ×5, first 2 shown]
	.long	22933757                        ; 0x15df0fd
	.long	3159941473                      ; 0xbc58e161
	.long	2321387515                      ; 0x8a5d8ffb
	;; [unrolled: 1-line block ×8, first 2 shown]
	.long	545651740                       ; 0x2085fc1c
	.long	1935764720                      ; 0x73616cf0
	.long	3252475208                      ; 0xc1dcd548
	.long	979047283                       ; 0x3a5b1373
	.long	862046434                       ; 0x3361c8e2
	;; [unrolled: 1-line block ×5, first 2 shown]
	.long	4201635137                      ; 0xfa6fdd41
	.long	883549156                       ; 0x34a9e3e4
	.long	907871968                       ; 0x361d06e0
	;; [unrolled: 1-line block ×4, first 2 shown]
	.long	2637527083                      ; 0x9d35782b
	.long	3306095271                      ; 0xc50f02a7
	.long	1452688488                      ; 0x56964468
	.long	621126888                       ; 0x2505a4e8
	.long	4275587594                      ; 0xfed84a0a
	.long	117966344                       ; 0x7080608
	.long	1785040579                      ; 0x6a658ec3
	;; [unrolled: 2-line block ×3, first 2 shown]
	.long	3806424990                      ; 0xe2e16f9e
	.long	733998186                       ; 0x2bbfec6a
	.long	1623968604                      ; 0x60cbcb5c
	.long	2997422000                      ; 0xb2a907b0
	;; [unrolled: 1-line block ×15, first 2 shown]
	.long	384880529                       ; 0x16f0cf91
	.long	3497622676                      ; 0xd0797c94
	.long	1024664651                      ; 0x3d13244b
	.long	723804135                       ; 0x2b245fe7
	.long	618916624                       ; 0x24e3eb10
	.long	1008618602                      ; 0x3c1e4c6a
	.long	2816673160                      ; 0xa7e30588
	.long	684112698                       ; 0x28c6bb3a
	.long	3275521308                      ; 0xc33c7d1c
	.long	3340690804                      ; 0xc71ee574
	;; [unrolled: 3-line block ×3, first 2 shown]
	.long	2023106558                      ; 0x789627fe
	.long	902990902                       ; 0x35d28c36
	.long	126319837                       ; 0x7877cdd
	.long	2155412848                      ; 0x8078fd70
	.long	228580793                       ; 0xd9fddb9
	.long	3978575748                      ; 0xed243f84
	.long	4254301999                      ; 0xfd937f2f
	;; [unrolled: 1-line block ×3, first 2 shown]
	.long	426191419                       ; 0x19672a3b
	.long	3157759186                      ; 0xbc3794d2
	.long	2446138116                      ; 0x91cd1b04
	;; [unrolled: 1-line block ×15, first 2 shown]
	.long	260248338                       ; 0xf831312
	.long	294480880                       ; 0x118d6bf0
	.long	1879451653                      ; 0x70062805
	.long	3168497089                      ; 0xbcdb6dc1
	.long	361311552                       ; 0x15892d40
	.long	2123195373                      ; 0x7e8d63ed
	.long	2080604411                      ; 0x7c0380fb
	.long	341920668                       ; 0x14614b9c
	.long	507483626                       ; 0x1e3f95ea
	.long	1201669979                      ; 0x47a0075b
	.long	910763802                       ; 0x3649271a
	.long	2012149356                      ; 0x77eef66c
	.long	3748705813                      ; 0xdf70b615
	;; [unrolled: 1-line block ×7, first 2 shown]
	.long	681020485                       ; 0x28978c45
	.long	4044713962                      ; 0xf1156fea
	.long	2443109893                      ; 0x919ee605
	;; [unrolled: 1-line block ×4, first 2 shown]
	.long	820410567                       ; 0x30e678c7
	.long	601527649                       ; 0x23da9561
	.long	1007603132                      ; 0x3c0ecdbc
	.long	1890290066                      ; 0x70ab8992
	;; [unrolled: 1-line block ×5, first 2 shown]
	.long	960265104                       ; 0x393c7b90
	.long	41870487                        ; 0x27ee497
	.long	2548692624                      ; 0x97e9f690
	.long	1106822080                      ; 0x41f8c3c0
	.long	1472807331                      ; 0x57c941a3
	.long	2465011897                      ; 0x92ed18b9
	.long	2382974023                      ; 0x8e094c47
	.long	736629379                       ; 0x2be81283
	.long	393081842                       ; 0x176df3f2
	.long	3826516196                      ; 0xe41400e4
	.long	2576499701                      ; 0x999243f5
	;; [unrolled: 1-line block ×8, first 2 shown]
	.long	191805249                       ; 0xb6eb741
	.long	496972334                       ; 0x1d9f322e
	;; [unrolled: 1-line block ×3, first 2 shown]
	.long	1355757111                      ; 0x50cf3637
	.long	3962907313                      ; 0xec352ab1
	.long	396738554                       ; 0x17a5bffa
	.long	2616327935                      ; 0x9bf1feff
	.long	2337227347                      ; 0x8b4f4253
	;; [unrolled: 1-line block ×3, first 2 shown]
	.long	552154011                       ; 0x20e9339b
	.long	3932761947                      ; 0xea692f5b
	.long	1893005585                      ; 0x70d4f911
	;; [unrolled: 1-line block ×4, first 2 shown]
	.long	895507243                       ; 0x35605b2b
	.long	3171160829                      ; 0xbd0412fd
	.long	3333292799                      ; 0xc6ae02ff
	;; [unrolled: 1-line block ×8, first 2 shown]
	.long	505718946                       ; 0x1e24a8a2
	.long	3245448088                      ; 0xc1719b98
	.long	1770588062                      ; 0x6989079e
	;; [unrolled: 1-line block ×14, first 2 shown]
	.long	545651740                       ; 0x2085fc1c
	.long	2873707882                      ; 0xab494d6a
	.long	3252475208                      ; 0xc1dcd548
	.long	979047283                       ; 0x3a5b1373
	.long	862046434                       ; 0x3361c8e2
	;; [unrolled: 1-line block ×5, first 2 shown]
	.long	4201635137                      ; 0xfa6fdd41
	.long	883549156                       ; 0x34a9e3e4
	.long	907871968                       ; 0x361d06e0
	;; [unrolled: 1-line block ×4, first 2 shown]
	.long	2637527083                      ; 0x9d35782b
	.long	3306095271                      ; 0xc50f02a7
	;; [unrolled: 1-line block ×5, first 2 shown]
	.long	117966344                       ; 0x7080608
	.long	1785040579                      ; 0x6a658ec3
	.long	454879400                       ; 0x1b1ce8a8
	.long	3484019450                      ; 0xcfa9eafa
	.long	3806424990                      ; 0xe2e16f9e
	.long	733998186                       ; 0x2bbfec6a
	.long	1623968604                      ; 0x60cbcb5c
	;; [unrolled: 3-line block ×3, first 2 shown]
	.long	3360491537                      ; 0xc84d0811
	.long	3053533585                      ; 0xb6013991
	;; [unrolled: 1-line block ×3, first 2 shown]
	.long	591311873                       ; 0x233eb401
	.long	3541927406                      ; 0xd31d85ee
	.long	1716078578                      ; 0x664947f2
	;; [unrolled: 1-line block ×7, first 2 shown]
	.long	384880529                       ; 0x16f0cf91
	.long	3497622676                      ; 0xd0797c94
	.long	1086566797                      ; 0x40c3b18d
	.long	723804135                       ; 0x2b245fe7
	.long	618916624                       ; 0x24e3eb10
	.long	1008618602                      ; 0x3c1e4c6a
	.long	2816673160                      ; 0xa7e30588
	;; [unrolled: 1-line block ×5, first 2 shown]
	.long	962627614                       ; 0x3960881e
	.long	3072103948                      ; 0xb71c960c
	.long	2910444460                      ; 0xad79dbac
	;; [unrolled: 1-line block ×3, first 2 shown]
	.long	902990902                       ; 0x35d28c36
	.long	126319837                       ; 0x7877cdd
	.long	2155412848                      ; 0x8078fd70
	.long	337119596                       ; 0x1418096c
	.long	3978575748                      ; 0xed243f84
	.long	4254301999                      ; 0xfd937f2f
	;; [unrolled: 1-line block ×3, first 2 shown]
	.long	426191419                       ; 0x19672a3b
	.long	3471778695                      ; 0xceef2387
	.long	2446138116                      ; 0x91cd1b04
	;; [unrolled: 1-line block ×16, first 2 shown]
	.long	294480880                       ; 0x118d6bf0
	.long	1879451653                      ; 0x70062805
	.long	3168497089                      ; 0xbcdb6dc1
	.long	361311552                       ; 0x15892d40
	.long	3417679321                      ; 0xcbb5a5d9
	.long	2080604411                      ; 0x7c0380fb
	.long	341920668                       ; 0x14614b9c
	.long	507483626                       ; 0x1e3f95ea
	.long	1201669979                      ; 0x47a0075b
	.long	3174274528                      ; 0xbd3395e0
	.long	2012149356                      ; 0x77eef66c
	.long	3748705813                      ; 0xdf70b615
	.long	3375736126                      ; 0xc935a53e
	.long	2857697336                      ; 0xaa550038
	.long	3929686609                      ; 0xea3a4251
	.long	2935748807                      ; 0xaefbf8c7
	.long	3336305747                      ; 0xc6dbfc53
	.long	681020485                       ; 0x28978c45
	.long	4044713962                      ; 0xf1156fea
	.long	405011299                       ; 0x1823fb63
	.long	2862982895                      ; 0xaaa5a6ef
	.long	2578353596                      ; 0x99ae8dbc
	.long	820410567                       ; 0x30e678c7
	.long	601527649                       ; 0x23da9561
	.long	4281957726                      ; 0xff397d5e
	.long	1890290066                      ; 0x70ab8992
	;; [unrolled: 1-line block ×6, first 2 shown]
	.long	41870487                        ; 0x27ee497
	.long	2548692624                      ; 0x97e9f690
	.long	1106822080                      ; 0x41f8c3c0
	;; [unrolled: 1-line block ×5, first 2 shown]
	.long	736629379                       ; 0x2be81283
	.long	393081842                       ; 0x176df3f2
	.long	3826516196                      ; 0xe41400e4
	.long	3225163595                      ; 0xc03c174b
	;; [unrolled: 1-line block ×8, first 2 shown]
	.long	191805249                       ; 0xb6eb741
	.long	496972334                       ; 0x1d9f322e
	;; [unrolled: 1-line block ×3, first 2 shown]
	.long	4293577013                      ; 0xffeac935
	.long	3962907313                      ; 0xec352ab1
	.long	396738554                       ; 0x17a5bffa
	.long	2616327935                      ; 0x9bf1feff
	.long	2337227347                      ; 0x8b4f4253
	;; [unrolled: 1-line block ×3, first 2 shown]
	.long	552154011                       ; 0x20e9339b
	.long	3932761947                      ; 0xea692f5b
	.long	1893005585                      ; 0x70d4f911
	;; [unrolled: 1-line block ×4, first 2 shown]
	.long	895507243                       ; 0x35605b2b
	.long	3171160829                      ; 0xbd0412fd
	.long	3333292799                      ; 0xc6ae02ff
	;; [unrolled: 1-line block ×10, first 2 shown]
	.long	247565591                       ; 0xec18d17
	.long	953356243                       ; 0x38d30fd3
	.long	4103354183                      ; 0xf4943747
	.long	1908418768                      ; 0x71c028d0
	;; [unrolled: 1-line block ×6, first 2 shown]
	.long	557880278                       ; 0x214093d6
	.long	2499771815                      ; 0x94ff7da7
	.long	2618380525                      ; 0x9c1150ed
	.long	732785004                       ; 0x2bad696c
	.long	1414011135                      ; 0x544818ff
	.long	2858311749                      ; 0xaa5e6045
	;; [unrolled: 1-line block ×4, first 2 shown]
	.long	645476041                       ; 0x26792ec9
	.long	683035653                       ; 0x28b64c05
	.long	4079609082                      ; 0xf329e4fa
	.long	2404111028                      ; 0x8f4bd2b4
	.long	3332056297                      ; 0xc69b24e9
	.long	3054547484                      ; 0xb610b21c
	.long	3616426087                      ; 0xd78e4867
	.long	1311379849                      ; 0x4e2a1189
	.long	3682136336                      ; 0xdb78f110
	.long	3795847093                      ; 0xe24007b5
	.long	1509718393                      ; 0x59fc7979
	.long	541389178                       ; 0x2044f17a
	.long	1103876446                      ; 0x41cbd15e
	.long	2549442278                      ; 0x97f566e6
	;; [unrolled: 1-line block ×4, first 2 shown]
	.long	523610761                       ; 0x1f35aa89
	.long	3889482885                      ; 0xe7d4cc85
	.long	3080739216                      ; 0xb7a05990
	;; [unrolled: 1-line block ×4, first 2 shown]
	.long	63567637                        ; 0x3c9f715
	.long	1520176098                      ; 0x5a9c0be2
	.long	1741685274                      ; 0x67d0021a
	;; [unrolled: 1-line block ×4, first 2 shown]
	.long	517809884                       ; 0x1edd26dc
	.long	2653145241                      ; 0x9e23c899
	.long	868296581                       ; 0x33c12785
	.long	646514407                       ; 0x268906e7
	.long	3166145188                      ; 0xbcb78aa4
	.long	3023629813                      ; 0xb438edf5
	;; [unrolled: 1-line block ×6, first 2 shown]
	.long	445460259                       ; 0x1a8d2f23
	.long	2682093551                      ; 0x9fdd7fef
	.long	3655100102                      ; 0xd9dc66c6
	.long	2592872076                      ; 0x9a8c168c
	.long	1588368999                      ; 0x5eac9667
	.long	3964958220                      ; 0xec54760c
	.long	755397374                       ; 0x2d0672fe
	.long	1912970603                      ; 0x72059d6b
	.long	396253754                       ; 0x179e5a3a
	.long	4260038354                      ; 0xfdeb06d2
	.long	1530898510                      ; 0x5b3fa84e
	;; [unrolled: 1-line block ×6, first 2 shown]
	.long	553869167                       ; 0x21035f6f
	.long	3162483580                      ; 0xbc7fab7c
	.long	1611891352                      ; 0x60138298
	.long	248738605                       ; 0xed3732d
	.long	3403092967                      ; 0xcad713e7
	.long	2194464420                      ; 0x82ccdea4
	;; [unrolled: 3-line block ×3, first 2 shown]
	.long	2397481985                      ; 0x8ee6ac01
	.long	2866414964                      ; 0xaada0574
	;; [unrolled: 1-line block ×4, first 2 shown]
	.long	762034588                       ; 0x2d6bb99c
	.long	2679383682                      ; 0x9fb42682
	.long	1848516655                      ; 0x6e2e202f
	;; [unrolled: 1-line block ×9, first 2 shown]
	.long	966205413                       ; 0x39971fe5
	.long	3897281091                      ; 0xe84bca43
	.long	2148139678                      ; 0x800a029e
	;; [unrolled: 1-line block ×3, first 2 shown]
	.long	427450194                       ; 0x197a5f52
	.long	3516115778                      ; 0xd193ab42
	.long	1864991059                      ; 0x6f298153
	.long	134448489                       ; 0x8038569
	.long	3397232480                      ; 0xca7da760
	.long	3999530682                      ; 0xee63feba
	;; [unrolled: 1-line block ×5, first 2 shown]
	.long	134554462                       ; 0x805235e
	.long	3447324105                      ; 0xcd79fdc9
	.long	86678510                        ; 0x52a9bee
	.long	1656551206                      ; 0x62bcf726
	.long	2844494044                      ; 0xa98b88dc
	;; [unrolled: 1-line block ×6, first 2 shown]
	.long	462585182                       ; 0x1b927d5e
	.long	1922457093                      ; 0x72965e05
	.long	3035264235                      ; 0xb4ea74eb
	;; [unrolled: 1-line block ×7, first 2 shown]
	.long	290683210                       ; 0x1153794a
	.long	2465427488                      ; 0x92f37020
	.long	3504862176                      ; 0xd0e7f3e0
	.long	793156806                       ; 0x2f469cc6
	.long	1722326752                      ; 0x66a89ee0
	.long	2706215067                      ; 0xa14d909b
	.long	3818976191                      ; 0xe3a0f3bf
	.long	2007064241                      ; 0x77a15eb1
	.long	552144413                       ; 0x20e90e1d
	.long	2692866408                      ; 0xa081e168
	.long	3975075075                      ; 0xeceed503
	;; [unrolled: 5-line block ×3, first 2 shown]
	.long	1343778249                      ; 0x50186dc9
	.long	912185207                       ; 0x365ed777
	.long	127278206                       ; 0x7961c7e
	.long	4168930635                      ; 0xf87cd54b
	.long	340393978                       ; 0x1449fffa
	.long	65814528                        ; 0x3ec4000
	.long	2552086271                      ; 0x981dbeff
	.long	2507474816                      ; 0x95750780
	;; [unrolled: 1-line block ×13, first 2 shown]
	.long	883516842                       ; 0x34a965aa
	.long	2077853840                      ; 0x7bd98890
	.long	229484673                       ; 0xdada881
	.long	448889887                       ; 0x1ac1841f
	.long	3508620909                      ; 0xd1214e6d
	.long	4164289950                      ; 0xf836059e
	.long	155254859                       ; 0x941004b
	.long	298319697                       ; 0x11c7ff51
	;; [unrolled: 1-line block ×3, first 2 shown]
	.long	3500794888                      ; 0xd0a9e408
	.long	3974907245                      ; 0xecec456d
	.long	682778656                       ; 0x28b26020
	.long	382798811                       ; 0x16d10bdb
	.long	1500342771                      ; 0x596d69f3
	.long	3942535492                      ; 0xeafe5144
	;; [unrolled: 1-line block ×4, first 2 shown]
	.long	561192171                       ; 0x21731ceb
	.long	4046277638                      ; 0xf12d4c06
	.long	840733718                       ; 0x321c9416
	.long	1694555864                      ; 0x6500ded8
	;; [unrolled: 2-line block ×3, first 2 shown]
	.long	2525929010                      ; 0x968e9e32
	.long	386794637                       ; 0x170e048d
	.long	349755829                       ; 0x14d8d9b5
	.long	2959959729                      ; 0xb06d66b1
	.long	686974318                       ; 0x28f2656e
	.long	3243688353                      ; 0xc156c1a1
	.long	3911051908                      ; 0xe91dea84
	;; [unrolled: 1-line block ×3, first 2 shown]
	.long	441833800                       ; 0x1a55d948
	.long	3164548257                      ; 0xbc9f2ca1
	.long	584185450                       ; 0x22d1f66a
	.long	450132281                       ; 0x1ad47939
	.long	3528356519                      ; 0xd24e72a7
	.long	4275666503                      ; 0xfed97e47
	;; [unrolled: 1-line block ×3, first 2 shown]
	.long	817077137                       ; 0x30b39b91
	.long	2945430988                      ; 0xaf8fb5cc
	.long	1532878265                      ; 0x5b5dddb9
	;; [unrolled: 1-line block ×12, first 2 shown]
	.long	860301545                       ; 0x334728e9
	.long	1590934964                      ; 0x5ed3bdb4
	.long	3371591516                      ; 0xc8f6675c
	;; [unrolled: 1-line block ×4, first 2 shown]
	.long	907316453                       ; 0x36148ce5
	.long	3541736952                      ; 0xd31a9df8
	.long	3572719697                      ; 0xd4f36051
	.long	278602945                       ; 0x109b24c1
	.long	4257620354                      ; 0xfdc62182
	.long	3396349537                      ; 0xca702e61
	;; [unrolled: 1-line block ×3, first 2 shown]
	.long	191271983                       ; 0xb66942f
	.long	2974056951                      ; 0xb14481f7
	.long	2743594803                      ; 0xa387ef33
	;; [unrolled: 1-line block ×3, first 2 shown]
	.long	815666748                       ; 0x309e163c
	.long	920991498                       ; 0x36e5370a
	;; [unrolled: 1-line block ×3, first 2 shown]
	.long	2008325469                      ; 0x77b49d5d
	.long	1548504646                      ; 0x5c4c4e46
	;; [unrolled: 1-line block ×3, first 2 shown]
	.long	993523345                       ; 0x3b37f691
	.long	1171349070                      ; 0x45d15e4e
	.long	4105576982                      ; 0xf4b62216
	;; [unrolled: 1-line block ×13, first 2 shown]
	.long	849777796                       ; 0x32a69484
	.long	4219173763                      ; 0xfb7b7b83
	.long	694869701                       ; 0x296adec5
	.long	1297370017                      ; 0x4d544ba1
	.long	3573985711                      ; 0xd506b1af
	;; [unrolled: 1-line block ×4, first 2 shown]
	.long	400850360                       ; 0x17e47db8
	.long	909653264                       ; 0x36383510
	.long	1496585542                      ; 0x59341546
	.long	460982606                       ; 0x1b7a094e
	.long	828640603                       ; 0x31640d5b
	.long	3993062500                      ; 0xee014c64
	.long	2145047281                      ; 0x7fdad2f1
	;; [unrolled: 1-line block ×3, first 2 shown]
	.long	912583500                       ; 0x3664eb4c
	.long	1234319994                      ; 0x49923a7a
	.long	4276951314                      ; 0xfeed1912
	.long	485282908                       ; 0x1cecd45c
	.long	1903750880                      ; 0x7178eee0
	.long	1667769214                      ; 0x6368237e
	;; [unrolled: 1-line block ×5, first 2 shown]
	.long	627857875                       ; 0x256c59d3
	.long	436470402                       ; 0x1a040282
	.long	1753727232                      ; 0x6887c100
	.long	50241405                        ; 0x2fe9f7d
	.long	206782941                       ; 0xc5341dd
	.long	612110492                       ; 0x247c109c
	;; [unrolled: 1-line block ×3, first 2 shown]
	.long	2567547031                      ; 0x9909a897
	.long	3360482779                      ; 0xc84ce5db
	.long	820704062                       ; 0x30eaf33e
	.long	412722485                       ; 0x1899a535
	.long	2044763466                      ; 0x79e09d4a
	.long	1915626743                      ; 0x722e24f7
	;; [unrolled: 1-line block ×4, first 2 shown]
	.long	53587450                        ; 0x331adfa
	.long	2457122208                      ; 0x9274b5a0
	.long	1397065983                      ; 0x534588ff
	;; [unrolled: 1-line block ×5, first 2 shown]
	.long	699377793                       ; 0x29afa881
	.long	157099022                       ; 0x95d240e
	.long	2792298089                      ; 0xa66f1669
	.long	3927835437                      ; 0xea1e032d
	;; [unrolled: 1-line block ×8, first 2 shown]
	.long	923451748                       ; 0x370ac164
	.long	3665432731                      ; 0xda7a109b
	.long	1577970518                      ; 0x5e0deb56
	;; [unrolled: 1-line block ×8, first 2 shown]
	.long	930842061                       ; 0x377b85cd
	.long	3816331201                      ; 0xe37897c1
	.long	1624573114                      ; 0x60d504ba
	;; [unrolled: 1-line block ×4, first 2 shown]
	.long	945407897                       ; 0x3859c799
	.long	63630679                        ; 0x3caed57
	.long	1852369563                      ; 0x6e68ea9b
	.long	971772965                       ; 0x39ec1425
	.long	2229069035                      ; 0x84dce4eb
	.long	2320405193                      ; 0x8a4e92c9
	;; [unrolled: 1-line block ×4, first 2 shown]
	.long	448889887                       ; 0x1ac1841f
	.long	3508620909                      ; 0xd1214e6d
	.long	4164289950                      ; 0xf836059e
	.long	155254859                       ; 0x941004b
	.long	3157319819                      ; 0xbc30e08b
	.long	980080883                       ; 0x3a6ad8f3
	.long	3500794888                      ; 0xd0a9e408
	.long	3974907245                      ; 0xecec456d
	.long	682778656                       ; 0x28b26020
	.long	3201604042                      ; 0xbed499ca
	.long	1500342771                      ; 0x596d69f3
	;; [unrolled: 1-line block ×7, first 2 shown]
	.long	840733718                       ; 0x321c9416
	.long	1694555864                      ; 0x6500ded8
	.long	241216466                       ; 0xe60abd2
	.long	2728337326                      ; 0xa29f1fae
	.long	2525929010                      ; 0x968e9e32
	.long	386794637                       ; 0x170e048d
	.long	349755829                       ; 0x14d8d9b5
	.long	2959959729                      ; 0xb06d66b1
	.long	20820947                        ; 0x13db3d3
	.long	3243688353                      ; 0xc156c1a1
	.long	3911051908                      ; 0xe91dea84
	;; [unrolled: 1-line block ×3, first 2 shown]
	.long	441833800                       ; 0x1a55d948
	.long	4143649787                      ; 0xf6fb13fb
	.long	584185450                       ; 0x22d1f66a
	.long	450132281                       ; 0x1ad47939
	.long	3528356519                      ; 0xd24e72a7
	.long	4275666503                      ; 0xfed97e47
	;; [unrolled: 1-line block ×3, first 2 shown]
	.long	817077137                       ; 0x30b39b91
	.long	2945430988                      ; 0xaf8fb5cc
	.long	1532878265                      ; 0x5b5dddb9
	;; [unrolled: 1-line block ×8, first 2 shown]
	.long	958085276                       ; 0x391b389c
	.long	3896025436                      ; 0xe838a15c
	.long	2349200248                      ; 0x8c05f378
	;; [unrolled: 1-line block ×3, first 2 shown]
	.long	860301545                       ; 0x334728e9
	.long	1701089635                      ; 0x65649163
	.long	3371591516                      ; 0xc8f6675c
	;; [unrolled: 1-line block ×4, first 2 shown]
	.long	907316453                       ; 0x36148ce5
	.long	1529987826                      ; 0x5b31c2f2
	.long	3572719697                      ; 0xd4f36051
	.long	278602945                       ; 0x109b24c1
	.long	4257620354                      ; 0xfdc62182
	.long	3396349537                      ; 0xca702e61
	;; [unrolled: 1-line block ×3, first 2 shown]
	.long	191271983                       ; 0xb66942f
	.long	2974056951                      ; 0xb14481f7
	.long	2743594803                      ; 0xa387ef33
	;; [unrolled: 1-line block ×4, first 2 shown]
	.long	920991498                       ; 0x36e5370a
	.long	187861899                       ; 0xb328b8b
	.long	2008325469                      ; 0x77b49d5d
	.long	1548504646                      ; 0x5c4c4e46
	.long	100038488                       ; 0x5f67758
	.long	993523345                       ; 0x3b37f691
	.long	1171349070                      ; 0x45d15e4e
	.long	4105576982                      ; 0xf4b62216
	;; [unrolled: 1-line block ×15, first 2 shown]
	.long	694869701                       ; 0x296adec5
	.long	1297370017                      ; 0x4d544ba1
	.long	3573985711                      ; 0xd506b1af
	;; [unrolled: 1-line block ×4, first 2 shown]
	.long	400850360                       ; 0x17e47db8
	.long	909653264                       ; 0x36383510
	.long	1496585542                      ; 0x59341546
	.long	1738256576                      ; 0x679bb0c0
	.long	828640603                       ; 0x31640d5b
	.long	3993062500                      ; 0xee014c64
	.long	2145047281                      ; 0x7fdad2f1
	;; [unrolled: 1-line block ×6, first 2 shown]
	.long	485282908                       ; 0x1cecd45c
	.long	1903750880                      ; 0x7178eee0
	.long	746205619                       ; 0x2c7a31b3
	.long	3950976882                      ; 0xeb7f1f72
	.long	3711912938                      ; 0xdd3f4bea
	;; [unrolled: 1-line block ×3, first 2 shown]
	.long	627857875                       ; 0x256c59d3
	.long	954627753                       ; 0x38e676a9
	.long	1753727232                      ; 0x6887c100
	.long	50241405                        ; 0x2fe9f7d
	.long	206782941                       ; 0xc5341dd
	.long	612110492                       ; 0x247c109c
	.long	2251018875                      ; 0x862bd27b
	.long	2567547031                      ; 0x9909a897
	;; [unrolled: 1-line block ×3, first 2 shown]
	.long	820704062                       ; 0x30eaf33e
	.long	412722485                       ; 0x1899a535
	.long	2120077037                      ; 0x7e5dceed
	.long	1915626743                      ; 0x722e24f7
	;; [unrolled: 1-line block ×4, first 2 shown]
	.long	53587450                        ; 0x331adfa
	.long	2696843657                      ; 0xa0be9189
	.long	1397065983                      ; 0x534588ff
	;; [unrolled: 1-line block ×6, first 2 shown]
	.long	157099022                       ; 0x95d240e
	.long	2792298089                      ; 0xa66f1669
	.long	3927835437                      ; 0xea1e032d
	;; [unrolled: 1-line block ×3, first 2 shown]
	.long	730099534                       ; 0x2b846f4e
	.long	2740420278                      ; 0xa3577eb6
	.long	2518077381                      ; 0x9616cfc5
	;; [unrolled: 1-line block ×13, first 2 shown]
	.long	930842061                       ; 0x377b85cd
	.long	3140947362                      ; 0xbb370da2
	.long	1624573114                      ; 0x60d504ba
	;; [unrolled: 1-line block ×4, first 2 shown]
	.long	945407897                       ; 0x3859c799
	.long	1282799903                      ; 0x4c75f91f
	.long	1852369563                      ; 0x6e68ea9b
	.long	971772965                       ; 0x39ec1425
	.long	2229069035                      ; 0x84dce4eb
	.long	2320405193                      ; 0x8a4e92c9
	.long	670134249                       ; 0x27f16fe9
	.long	1666937976                      ; 0x635b7478
	.long	448889887                       ; 0x1ac1841f
	.long	3508620909                      ; 0xd1214e6d
	.long	4164289950                      ; 0xf836059e
	.long	127045110                       ; 0x7928df6
	.long	3157319819                      ; 0xbc30e08b
	.long	980080883                       ; 0x3a6ad8f3
	.long	3500794888                      ; 0xd0a9e408
	.long	3974907245                      ; 0xecec456d
	;; [unrolled: 1-line block ×7, first 2 shown]
	.long	306788856                       ; 0x124939f8
	.long	3235144326                      ; 0xc0d46286
	.long	4046277638                      ; 0xf12d4c06
	.long	840733718                       ; 0x321c9416
	.long	1694555864                      ; 0x6500ded8
	.long	2260304655                      ; 0x86b9830f
	;; [unrolled: 1-line block ×4, first 2 shown]
	.long	386794637                       ; 0x170e048d
	.long	349755829                       ; 0x14d8d9b5
	.long	3842816805                      ; 0xe50cbb25
	.long	20820947                        ; 0x13db3d3
	.long	3243688353                      ; 0xc156c1a1
	.long	3911051908                      ; 0xe91dea84
	;; [unrolled: 1-line block ×5, first 2 shown]
	.long	584185450                       ; 0x22d1f66a
	.long	450132281                       ; 0x1ad47939
	.long	3528356519                      ; 0xd24e72a7
	.long	550401017                       ; 0x20ce73f9
	.long	3541347868                      ; 0xd314ae1c
	.long	817077137                       ; 0x30b39b91
	.long	2945430988                      ; 0xaf8fb5cc
	.long	1532878265                      ; 0x5b5dddb9
	.long	1045681234                      ; 0x3e53d452
	;; [unrolled: 1-line block ×7, first 2 shown]
	.long	958085276                       ; 0x391b389c
	.long	3896025436                      ; 0xe838a15c
	.long	2349200248                      ; 0x8c05f378
	;; [unrolled: 1-line block ×11, first 2 shown]
	.long	278602945                       ; 0x109b24c1
	.long	4257620354                      ; 0xfdc62182
	.long	2479560493                      ; 0x93cb172d
	;; [unrolled: 1-line block ×3, first 2 shown]
	.long	191271983                       ; 0xb66942f
	.long	2974056951                      ; 0xb14481f7
	.long	2743594803                      ; 0xa387ef33
	;; [unrolled: 1-line block ×4, first 2 shown]
	.long	920991498                       ; 0x36e5370a
	.long	187861899                       ; 0xb328b8b
	.long	2008325469                      ; 0x77b49d5d
	.long	1300371976                      ; 0x4d821a08
	.long	100038488                       ; 0x5f67758
	.long	993523345                       ; 0x3b37f691
	.long	1171349070                      ; 0x45d15e4e
	.long	4105576982                      ; 0xf4b62216
	;; [unrolled: 1-line block ×7, first 2 shown]
	.long	207153762                       ; 0xc58ea62
	.long	3644225670                      ; 0xd9367886
	.long	2831224398                      ; 0xa8c10e4e
	;; [unrolled: 1-line block ×4, first 2 shown]
	.long	916783095                       ; 0x36a4fff7
	.long	1292003378                      ; 0x4d026832
	.long	4219173763                      ; 0xfb7b7b83
	.long	694869701                       ; 0x296adec5
	.long	1297370017                      ; 0x4d544ba1
	.long	3388725608                      ; 0xc9fbd968
	;; [unrolled: 1-line block ×4, first 2 shown]
	.long	400850360                       ; 0x17e47db8
	.long	909653264                       ; 0x36383510
	.long	2421730678                      ; 0x9058ad76
	.long	1738256576                      ; 0x679bb0c0
	.long	828640603                       ; 0x31640d5b
	.long	3993062500                      ; 0xee014c64
	.long	2145047281                      ; 0x7fdad2f1
	.long	2123619770                      ; 0x7e93ddba
	.long	3478998519                      ; 0xcf5d4df7
	.long	1234319994                      ; 0x49923a7a
	.long	4276951314                      ; 0xfeed1912
	.long	485282908                       ; 0x1cecd45c
	.long	4002661777                      ; 0xee93c591
	.long	746205619                       ; 0x2c7a31b3
	.long	3950976882                      ; 0xeb7f1f72
	.long	3711912938                      ; 0xdd3f4bea
	;; [unrolled: 1-line block ×4, first 2 shown]
	.long	954627753                       ; 0x38e676a9
	.long	1753727232                      ; 0x6887c100
	.long	50241405                        ; 0x2fe9f7d
	.long	206782941                       ; 0xc5341dd
	.long	460314337                       ; 0x1b6fd6e1
	.long	2251018875                      ; 0x862bd27b
	.long	2567547031                      ; 0x9909a897
	;; [unrolled: 1-line block ×3, first 2 shown]
	.long	820704062                       ; 0x30eaf33e
	.long	1339598718                      ; 0x4fd8a77e
	.long	2120077037                      ; 0x7e5dceed
	;; [unrolled: 1-line block ×5, first 2 shown]
	.long	660730207                       ; 0x2761f15f
	.long	2696843657                      ; 0xa0be9189
	.long	1397065983                      ; 0x534588ff
	;; [unrolled: 1-line block ×4, first 2 shown]
	.long	126840648                       ; 0x78f6f48
	.long	3308142895                      ; 0xc52e412f
	.long	157099022                       ; 0x95d240e
	.long	2792298089                      ; 0xa66f1669
	.long	3927835437                      ; 0xea1e032d
	;; [unrolled: 1-line block ×3, first 2 shown]
	.long	730099534                       ; 0x2b846f4e
	.long	2740420278                      ; 0xa3577eb6
	.long	2518077381                      ; 0x9616cfc5
	;; [unrolled: 1-line block ×8, first 2 shown]
	.long	832572764                       ; 0x31a00d5c
	.long	2987545029                      ; 0xb21251c5
	.long	1632232822                      ; 0x6149e576
	;; [unrolled: 1-line block ×12, first 2 shown]
	.long	971772965                       ; 0x39ec1425
	.long	2229069035                      ; 0x84dce4eb
	.long	3735782785                      ; 0xdeab8581
	.long	670134249                       ; 0x27f16fe9
	.long	1666937976                      ; 0x635b7478
	.long	448889887                       ; 0x1ac1841f
	.long	3508620909                      ; 0xd1214e6d
	.long	3681408470                      ; 0xdb6dd5d6
	.long	127045110                       ; 0x7928df6
	.long	3157319819                      ; 0xbc30e08b
	.long	980080883                       ; 0x3a6ad8f3
	.long	3500794888                      ; 0xd0a9e408
	.long	3967872553                      ; 0xec80ee29
	;; [unrolled: 1-line block ×6, first 2 shown]
	.long	613854690                       ; 0x2496ade2
	.long	306788856                       ; 0x124939f8
	.long	3235144326                      ; 0xc0d46286
	.long	4046277638                      ; 0xf12d4c06
	.long	840733718                       ; 0x321c9416
	.long	3957877023                      ; 0xebe8691f
	.long	2260304655                      ; 0x86b9830f
	;; [unrolled: 1-line block ×4, first 2 shown]
	.long	386794637                       ; 0x170e048d
	.long	1779451936                      ; 0x6a104820
	.long	3842816805                      ; 0xe50cbb25
	.long	20820947                        ; 0x13db3d3
	.long	3243688353                      ; 0xc156c1a1
	.long	3911051908                      ; 0xe91dea84
	.long	688470429                       ; 0x2909399d
	.long	3398227861                      ; 0xca8cd795
	.long	4143649787                      ; 0xf6fb13fb
	.long	584185450                       ; 0x22d1f66a
	.long	450132281                       ; 0x1ad47939
	.long	3381050556                      ; 0xc986bcbc
	.long	550401017                       ; 0x20ce73f9
	.long	3541347868                      ; 0xd314ae1c
	.long	817077137                       ; 0x30b39b91
	.long	2945430988                      ; 0xaf8fb5cc
	.long	1859551669                      ; 0x6ed681b5
	.long	1045681234                      ; 0x3e53d452
	;; [unrolled: 1-line block ×5, first 2 shown]
	.long	53681099                        ; 0x3331bcb
	.long	1153297031                      ; 0x44bdea87
	.long	958085276                       ; 0x391b389c
	.long	3896025436                      ; 0xe838a15c
	.long	2349200248                      ; 0x8c05f378
	;; [unrolled: 1-line block ×11, first 2 shown]
	.long	278602945                       ; 0x109b24c1
	.long	46913829                        ; 0x2cbd925
	.long	2479560493                      ; 0x93cb172d
	.long	4120000342                      ; 0xf5923756
	.long	191271983                       ; 0xb66942f
	.long	2974056951                      ; 0xb14481f7
	.long	1361976701                      ; 0x512e1d7d
	;; [unrolled: 1-line block ×4, first 2 shown]
	.long	920991498                       ; 0x36e5370a
	.long	187861899                       ; 0xb328b8b
	.long	1237191391                      ; 0x49be0adf
	.long	1300371976                      ; 0x4d821a08
	.long	100038488                       ; 0x5f67758
	.long	993523345                       ; 0x3b37f691
	.long	1171349070                      ; 0x45d15e4e
	.long	3168325479                      ; 0xbcd8cf67
	;; [unrolled: 1-line block ×7, first 2 shown]
	.long	207153762                       ; 0xc58ea62
	.long	3644225670                      ; 0xd9367886
	.long	2831224398                      ; 0xa8c10e4e
	;; [unrolled: 1-line block ×4, first 2 shown]
	.long	916783095                       ; 0x36a4fff7
	.long	1292003378                      ; 0x4d026832
	.long	4219173763                      ; 0xfb7b7b83
	.long	694869701                       ; 0x296adec5
	.long	4150182218                      ; 0xf75ec14a
	.long	3388725608                      ; 0xc9fbd968
	;; [unrolled: 1-line block ×4, first 2 shown]
	.long	400850360                       ; 0x17e47db8
	.long	654034492                       ; 0x26fbc63c
	.long	2421730678                      ; 0x9058ad76
	.long	1738256576                      ; 0x679bb0c0
	.long	828640603                       ; 0x31640d5b
	.long	3993062500                      ; 0xee014c64
	.long	84735560                        ; 0x50cf648
	.long	2123619770                      ; 0x7e93ddba
	.long	3478998519                      ; 0xcf5d4df7
	;; [unrolled: 1-line block ×6, first 2 shown]
	.long	746205619                       ; 0x2c7a31b3
	.long	3950976882                      ; 0xeb7f1f72
	.long	3711912938                      ; 0xdd3f4bea
	.long	426068544                       ; 0x19654a40
	.long	1230937254                      ; 0x495e9ca6
	.long	954627753                       ; 0x38e676a9
	.long	1753727232                      ; 0x6887c100
	.long	50241405                        ; 0x2fe9f7d
	.long	589286339                       ; 0x231fcbc3
	.long	460314337                       ; 0x1b6fd6e1
	.long	2251018875                      ; 0x862bd27b
	.long	2567547031                      ; 0x9909a897
	;; [unrolled: 1-line block ×9, first 2 shown]
	.long	660730207                       ; 0x2761f15f
	.long	2696843657                      ; 0xa0be9189
	.long	1397065983                      ; 0x534588ff
	;; [unrolled: 1-line block ×4, first 2 shown]
	.long	126840648                       ; 0x78f6f48
	.long	3308142895                      ; 0xc52e412f
	.long	157099022                       ; 0x95d240e
	.long	2792298089                      ; 0xa66f1669
	;; [unrolled: 2-line block ×4, first 2 shown]
	.long	2518077381                      ; 0x9616cfc5
	.long	418832171                       ; 0x18f6df2b
	.long	1879512787                      ; 0x700716d3
	.long	2126745526                      ; 0x7ec38fb6
	;; [unrolled: 1-line block ×4, first 2 shown]
	.long	721018                          ; 0xb007a
	.long	832572764                       ; 0x31a00d5c
	.long	2987545029                      ; 0xb21251c5
	.long	1632232822                      ; 0x6149e576
	;; [unrolled: 1-line block ×12, first 2 shown]
	.long	971772965                       ; 0x39ec1425
	.long	2160782957                      ; 0x80caee6d
	.long	105464019                       ; 0x64940d3
	.long	2131462864                      ; 0x7f0b8ad0
	;; [unrolled: 2-line block ×3, first 2 shown]
	.long	1374396416                      ; 0x51eba000
	.long	4269753677                      ; 0xfe7f454d
	;; [unrolled: 1-line block ×3, first 2 shown]
	.long	37563880                        ; 0x23d2de8
	.long	3956352262                      ; 0xebd12506
	.long	2168603656                      ; 0x81424408
	.long	311623712                       ; 0x12930020
	.long	1593371323                      ; 0x5ef8eabb
	.long	351020595                       ; 0x14ec2633
	.long	3439337532                      ; 0xcd00203c
	.long	3130874657                      ; 0xba9d5b21
	;; [unrolled: 1-line block ×3, first 2 shown]
	.long	695789539                       ; 0x2978e7e3
	.long	609797513                       ; 0x2458c589
	.long	53642143                        ; 0x332839f
	.long	1479027519                      ; 0x58282b3f
	.long	1588831722                      ; 0x5eb3a5ea
	.long	262810641                       ; 0xfaa2c11
	.long	3418379977                      ; 0xcbc056c9
	.long	530167431                       ; 0x1f99b687
	.long	1962487963                      ; 0x74f9309b
	.long	2410103328                      ; 0x8fa74220
	;; [unrolled: 1-line block ×22, first 2 shown]
	.long	452731958                       ; 0x1afc2436
	.long	2983755220                      ; 0xb1d87dd4
	.long	1674750403                      ; 0x63d2a9c3
	;; [unrolled: 1-line block ×6, first 2 shown]
	.long	669573402                       ; 0x27e8e11a
	.long	1824298084                      ; 0x6cbc9464
	.long	22336337                        ; 0x154d351
	.long	3366446304                      ; 0xc8a7e4e0
	.long	1536043612                      ; 0x5b8e2a5c
	;; [unrolled: 1-line block ×6, first 2 shown]
	.long	716832039                       ; 0x2ab9fd27
	.long	4286149460                      ; 0xff797354
	.long	814849965                       ; 0x30919fad
	.long	4239224908                      ; 0xfcad704c
	.long	2453627262                      ; 0x923f617e
	.long	976385355                       ; 0x3a32754b
	.long	1846129423                      ; 0x6e09b30f
	.long	52096201                        ; 0x31aecc9
	.long	88835472                        ; 0x54b8590
	.long	2621770794                      ; 0x9c450c2a
	.long	2491757130                      ; 0x9485324a
	;; [unrolled: 1-line block ×3, first 2 shown]
	.long	576668065                       ; 0x225f41a1
	.long	2186701850                      ; 0x82566c1a
	.long	3357019214                      ; 0xc8180c4e
	.long	442191324                       ; 0x1a5b4ddc
	.long	3662645846                      ; 0xda4f8a56
	.long	3653766782                      ; 0xd9c80e7e
	;; [unrolled: 1-line block ×13, first 2 shown]
	.long	221661496                       ; 0xd364938
	.long	3246988243                      ; 0xc1891bd3
	.long	2718455491                      ; 0xa20856c3
	.long	483517148                       ; 0x1cd1e2dc
	.long	4181332651                      ; 0xf93a12ab
	.long	1143646375                      ; 0x442aa8a7
	;; [unrolled: 1-line block ×3, first 2 shown]
	.long	331164544                       ; 0x13bd2b80
	.long	539836322                       ; 0x202d3fa2
	.long	3485371630                      ; 0xcfbe8cee
	.long	1110077273                      ; 0x422a6f59
	;; [unrolled: 1-line block ×3, first 2 shown]
	.long	145720169                       ; 0x8af8369
	.long	2382276586                      ; 0x8dfea7ea
	.long	4276410795                      ; 0xfee4d9ab
	;; [unrolled: 1-line block ×3, first 2 shown]
	.long	936524156                       ; 0x37d2397c
	.long	15415192                        ; 0xeb3798
	.long	1815949694                      ; 0x6c3d317e
	.long	272696290                       ; 0x104103e2
	.long	1495465483                      ; 0x5922fe0b
	.long	3102030383                      ; 0xb8e53a2f
	;; [unrolled: 1-line block ×4, first 2 shown]
	.long	759699322                       ; 0x2d48177a
	.long	1161486824                      ; 0x453ae1e8
	.long	1146281812                      ; 0x4452df54
	;; [unrolled: 1-line block ×7, first 2 shown]
	.long	209698652                       ; 0xc7fbf5c
	.long	3836657987                      ; 0xe4aec143
	.long	1782152220                      ; 0x6a397c1c
	;; [unrolled: 1-line block ×4, first 2 shown]
	.long	537862234                       ; 0x200f205a
	.long	1696168156                      ; 0x651978dc
	.long	4022607                         ; 0x3d614f
	.long	3642864269                      ; 0xd921b28d
	.long	54404878                        ; 0x33e270e
	.long	2925910542                      ; 0xae65da0e
	.long	3444042482                      ; 0xcd47eaf2
	;; [unrolled: 1-line block ×4, first 2 shown]
	.long	614870298                       ; 0x24a62d1a
	.long	1139082272                      ; 0x43e50420
	.long	3672546472                      ; 0xdae69ca8
	;; [unrolled: 1-line block ×5, first 2 shown]
	.long	380553853                       ; 0x16aeca7d
	.long	750118352                       ; 0x2cb5e5d0
	;; [unrolled: 1-line block ×4, first 2 shown]
	.long	2936846643                      ; 0xaf0cb933
	.long	3460652101                      ; 0xce455c45
	;; [unrolled: 1-line block ×4, first 2 shown]
	.long	523359404                       ; 0x1f31d4ac
	.long	2751912206                      ; 0xa406d90e
	.long	3302219188                      ; 0xc4d3ddb4
	;; [unrolled: 1-line block ×20, first 2 shown]
	.long	787920018                       ; 0x2ef6b492
	.long	695635693                       ; 0x29768eed
	.long	2746034685                      ; 0xa3ad29fd
	.long	2078139227                      ; 0x7bdde35b
	;; [unrolled: 1-line block ×4, first 2 shown]
	.long	449503505                       ; 0x1acae111
	.long	3004993826                      ; 0xb31c9122
	.long	2045843139                      ; 0x79f116c3
	;; [unrolled: 1-line block ×3, first 2 shown]
	.long	148449881                       ; 0x8d92a59
	.long	457819243                       ; 0x1b49c46b
	.long	4089112489                      ; 0xf3bae7a9
	.long	1713441237                      ; 0x662109d5
	;; [unrolled: 1-line block ×5, first 2 shown]
	.long	811825474                       ; 0x30637942
	.long	4089105370                      ; 0xf3bacbda
	.long	708239097                       ; 0x2a36def9
	.long	1494832299                      ; 0x591954ab
	.long	2074902973                      ; 0x7bac81bd
	.long	468898217                       ; 0x1bf2d1a9
	.long	1722559700                      ; 0x66ac2cd4
	.long	2499754488                      ; 0x94ff39f8
	;; [unrolled: 1-line block ×3, first 2 shown]
	.long	650114709                       ; 0x26bff695
	.long	549502184                       ; 0x20c0bce8
	.long	4040463514                      ; 0xf0d4949a
	.long	4228169080                      ; 0xfc04bd78
	;; [unrolled: 1-line block ×6, first 2 shown]
	.long	197348940                       ; 0xbc34e4c
	.long	1669884894                      ; 0x63886bde
	.long	3982326753                      ; 0xed5d7be1
	;; [unrolled: 1-line block ×10, first 2 shown]
	.long	132720476                       ; 0x7e9275c
	.long	3020305599                      ; 0xb40634bf
	.long	154822619                       ; 0x93a67db
	.long	2595474066                      ; 0x9ab3ca92
	.long	1654579304                      ; 0x629ee068
	;; [unrolled: 1-line block ×3, first 2 shown]
	.long	891320674                       ; 0x35207962
	.long	3153502700                      ; 0xbbf6a1ec
	.long	601607977                       ; 0x23dbcf29
	.long	2695457160                      ; 0xa0a96988
	.long	4137981809                      ; 0xf6a49771
	.long	37584248                        ; 0x23d7d78
	.long	1674050253                      ; 0x63c7facd
	.long	1805619463                      ; 0x6b9f9107
	.long	676369068                       ; 0x285092ac
	.long	2294902904                      ; 0x88c97078
	.long	658143166                       ; 0x273a77be
	.long	141452045                       ; 0x86e630d
	.long	2383327493                      ; 0x8e0eb105
	.long	1222336195                      ; 0x48db5ec3
	;; [unrolled: 1-line block ×6, first 2 shown]
	.long	453206569                       ; 0x1b036229
	.long	3190116972                      ; 0xbe25526c
	.long	1480368955                      ; 0x583ca33b
	;; [unrolled: 1-line block ×5, first 2 shown]
	.long	182547022                       ; 0xae1724e
	.long	360165920                       ; 0x1577b220
	.long	3378423016                      ; 0xc95ea4e8
	.long	1443723222                      ; 0x560d77d6
	;; [unrolled: 1-line block ×4, first 2 shown]
	.long	664283285                       ; 0x27982895
	.long	258077235                       ; 0xf61f233
	.long	3071875976                      ; 0xb7191b88
	.long	240688930                       ; 0xe589f22
	.long	988895736                       ; 0x3af159f8
	.long	2965351284                      ; 0xb0bfab74
	.long	91332032                        ; 0x5719dc0
	.long	941306162                       ; 0x381b3132
	.long	2464278288                      ; 0x92e1e710
	.long	3493666272                      ; 0xd03d1de0
	;; [unrolled: 1-line block ×4, first 2 shown]
	.long	24726067                        ; 0x1794a33
	.long	3025656863                      ; 0xb457dc1f
	.long	1343636659                      ; 0x501644b3
	;; [unrolled: 1-line block ×4, first 2 shown]
	.long	461428710                       ; 0x1b80d7e6
	.long	2449005423                      ; 0x91f8db6f
	.long	3220070834                      ; 0xbfee61b2
	;; [unrolled: 1-line block ×3, first 2 shown]
	.long	907095008                       ; 0x36112be0
	.long	428073188                       ; 0x1983e0e4
	.long	1938061314                      ; 0x73847802
	.long	2094361729                      ; 0x7cd56c81
	;; [unrolled: 1-line block ×3, first 2 shown]
	.long	346999411                       ; 0x14aeca73
	.long	990247709                       ; 0x3b05fb1d
	.long	1630488660                      ; 0x612f4854
	.long	2574142591                      ; 0x996e4c7f
	;; [unrolled: 1-line block ×7, first 2 shown]
	.long	939392801                       ; 0x37fdff21
	.long	1610069434                      ; 0x5ff7b5ba
	.long	1935303983                      ; 0x735a652f
	;; [unrolled: 1-line block ×6, first 2 shown]
	.long	174125899                       ; 0xa60f34b
	.long	4113855120                      ; 0xf5347290
	.long	2449365101                      ; 0x91fe586d
	;; [unrolled: 1-line block ×9, first 2 shown]
	.long	388172915                       ; 0x17230c73
	.long	1125615727                      ; 0x4317886f
	.long	881693338                       ; 0x348d929a
	.long	3313110562                      ; 0xc57a0e22
	.long	859388069                       ; 0x333938a5
	.long	177786360                       ; 0xa98cdf8
	.long	4134747901                      ; 0xf6733efd
	.long	616417204                       ; 0x24bdc7b4
	.long	2104495620                      ; 0x7d700e04
	.long	783302897                       ; 0x2eb040f1
	.long	512784708                       ; 0x1e907944
	.long	1295821322                      ; 0x4d3caa0a
	.long	3810209448                      ; 0xe31b2ea8
	;; [unrolled: 1-line block ×17, first 2 shown]
	.long	787920018                       ; 0x2ef6b492
	.long	73007125                        ; 0x45a0015
	.long	2746034685                      ; 0xa3ad29fd
	.long	2078139227                      ; 0x7bdde35b
	;; [unrolled: 1-line block ×8, first 2 shown]
	.long	148449881                       ; 0x8d92a59
	.long	3343221736                      ; 0xc74583e8
	.long	4089112489                      ; 0xf3bae7a9
	;; [unrolled: 1-line block ×6, first 2 shown]
	.long	811825474                       ; 0x30637942
	.long	4089105370                      ; 0xf3bacbda
	.long	708239097                       ; 0x2a36def9
	.long	1494832299                      ; 0x591954ab
	.long	2485576001                      ; 0x9426e141
	.long	468898217                       ; 0x1bf2d1a9
	.long	1722559700                      ; 0x66ac2cd4
	.long	2499754488                      ; 0x94ff39f8
	;; [unrolled: 1-line block ×4, first 2 shown]
	.long	549502184                       ; 0x20c0bce8
	.long	4040463514                      ; 0xf0d4949a
	.long	4228169080                      ; 0xfc04bd78
	;; [unrolled: 1-line block ×6, first 2 shown]
	.long	197348940                       ; 0xbc34e4c
	.long	1669884894                      ; 0x63886bde
	.long	3596140613                      ; 0xd658c045
	;; [unrolled: 1-line block ×10, first 2 shown]
	.long	132720476                       ; 0x7e9275c
	.long	344033794                       ; 0x14818a02
	;; [unrolled: 1-line block ×3, first 2 shown]
	.long	2595474066                      ; 0x9ab3ca92
	.long	1654579304                      ; 0x629ee068
	;; [unrolled: 1-line block ×5, first 2 shown]
	.long	601607977                       ; 0x23dbcf29
	.long	2695457160                      ; 0xa0a96988
	.long	4137981809                      ; 0xf6a49771
	;; [unrolled: 1-line block ×5, first 2 shown]
	.long	676369068                       ; 0x285092ac
	.long	2294902904                      ; 0x88c97078
	.long	1583197657                      ; 0x5e5dadd9
	.long	141452045                       ; 0x86e630d
	.long	2383327493                      ; 0x8e0eb105
	.long	1222336195                      ; 0x48db5ec3
	;; [unrolled: 1-line block ×6, first 2 shown]
	.long	453206569                       ; 0x1b036229
	.long	3190116972                      ; 0xbe25526c
	.long	1939413704                      ; 0x73991ac8
	;; [unrolled: 1-line block ×5, first 2 shown]
	.long	182547022                       ; 0xae1724e
	.long	2911760834                      ; 0xad8df1c2
	.long	3378423016                      ; 0xc95ea4e8
	;; [unrolled: 1-line block ×6, first 2 shown]
	.long	258077235                       ; 0xf61f233
	.long	3071875976                      ; 0xb7191b88
	.long	240688930                       ; 0xe589f22
	.long	988895736                       ; 0x3af159f8
	.long	4263328855                      ; 0xfe1d3c57
	.long	91332032                        ; 0x5719dc0
	.long	941306162                       ; 0x381b3132
	.long	2464278288                      ; 0x92e1e710
	.long	3493666272                      ; 0xd03d1de0
	;; [unrolled: 1-line block ×4, first 2 shown]
	.long	24726067                        ; 0x1794a33
	.long	3025656863                      ; 0xb457dc1f
	.long	1343636659                      ; 0x501644b3
	.long	257301433                       ; 0xf561bb9
	.long	3097408183                      ; 0xb89eb2b7
	.long	461428710                       ; 0x1b80d7e6
	.long	2449005423                      ; 0x91f8db6f
	.long	3220070834                      ; 0xbfee61b2
	;; [unrolled: 1-line block ×3, first 2 shown]
	.long	907095008                       ; 0x36112be0
	.long	428073188                       ; 0x1983e0e4
	.long	1938061314                      ; 0x73847802
	.long	2094361729                      ; 0x7cd56c81
	;; [unrolled: 1-line block ×3, first 2 shown]
	.long	346999411                       ; 0x14aeca73
	.long	990247709                       ; 0x3b05fb1d
	.long	1630488660                      ; 0x612f4854
	.long	2574142591                      ; 0x996e4c7f
	.long	1466763688                      ; 0x576d09a8
	.long	1906935236                      ; 0x71a985c4
	.long	1592544037                      ; 0x5eec4b25
	.long	4168163186                      ; 0xf8711f72
	.long	2773942807                      ; 0xa5570217
	.long	3608227467                      ; 0xd7112e8b
	.long	1610069434                      ; 0x5ff7b5ba
	.long	1935303983                      ; 0x735a652f
	.long	2962954128                      ; 0xb09b1790
	.long	2490925509                      ; 0x947881c5
	.long	825197245                       ; 0x312f82bd
	.long	3614258069                      ; 0xd76d3395
	.long	174125899                       ; 0xa60f34b
	.long	4113855120                      ; 0xf5347290
	.long	2449365101                      ; 0x91fe586d
	.long	167881680                       ; 0xa01abd0
	.long	4115219971                      ; 0xf5494603
	.long	3187664453                      ; 0xbdffe645
	;; [unrolled: 1-line block ×6, first 2 shown]
	.long	388172915                       ; 0x17230c73
	.long	1125615727                      ; 0x4317886f
	.long	881693338                       ; 0x348d929a
	.long	223946687                       ; 0xd5927bf
	;; [unrolled: 1-line block ×4, first 2 shown]
	.long	4134747901                      ; 0xf6733efd
	.long	616417204                       ; 0x24bdc7b4
	.long	722598357                       ; 0x2b11f9d5
	;; [unrolled: 1-line block ×4, first 2 shown]
	.long	1295821322                      ; 0x4d3caa0a
	.long	3810209448                      ; 0xe31b2ea8
	;; [unrolled: 1-line block ×18, first 2 shown]
	.long	73007125                        ; 0x45a0015
	.long	2746034685                      ; 0xa3ad29fd
	.long	2078139227                      ; 0x7bdde35b
	;; [unrolled: 1-line block ×8, first 2 shown]
	.long	36092756                        ; 0x226bb54
	.long	3343221736                      ; 0xc74583e8
	.long	4089112489                      ; 0xf3bae7a9
	;; [unrolled: 1-line block ×6, first 2 shown]
	.long	811825474                       ; 0x30637942
	.long	4089105370                      ; 0xf3bacbda
	.long	708239097                       ; 0x2a36def9
	.long	4135459720                      ; 0xf67e1b88
	.long	2485576001                      ; 0x9426e141
	.long	468898217                       ; 0x1bf2d1a9
	.long	1722559700                      ; 0x66ac2cd4
	.long	2499754488                      ; 0x94ff39f8
	;; [unrolled: 1-line block ×4, first 2 shown]
	.long	549502184                       ; 0x20c0bce8
	.long	4040463514                      ; 0xf0d4949a
	.long	4228169080                      ; 0xfc04bd78
	;; [unrolled: 1-line block ×6, first 2 shown]
	.long	197348940                       ; 0xbc34e4c
	.long	4225425195                      ; 0xfbdadf2b
	.long	3596140613                      ; 0xd658c045
	;; [unrolled: 1-line block ×10, first 2 shown]
	.long	270743120                       ; 0x10233650
	.long	344033794                       ; 0x14818a02
	;; [unrolled: 1-line block ×3, first 2 shown]
	.long	2595474066                      ; 0x9ab3ca92
	.long	1654579304                      ; 0x629ee068
	.long	986127123                       ; 0x3ac71b13
	.long	1849659590                      ; 0x6e3f90c6
	.long	3153502700                      ; 0xbbf6a1ec
	.long	601607977                       ; 0x23dbcf29
	.long	2695457160                      ; 0xa0a96988
	.long	437034992                       ; 0x1a0c9ff0
	.long	3559496104                      ; 0xd42999a8
	.long	1674050253                      ; 0x63c7facd
	;; [unrolled: 1-line block ×3, first 2 shown]
	.long	676369068                       ; 0x285092ac
	.long	956939381                       ; 0x3909bc75
	.long	1583197657                      ; 0x5e5dadd9
	.long	141452045                       ; 0x86e630d
	.long	2383327493                      ; 0x8e0eb105
	.long	1222336195                      ; 0x48db5ec3
	;; [unrolled: 1-line block ×6, first 2 shown]
	.long	453206569                       ; 0x1b036229
	.long	3610364652                      ; 0xd731caec
	.long	1939413704                      ; 0x73991ac8
	.long	1145768764                      ; 0x444b0b3c
	.long	3628222572                      ; 0xd842486c
	.long	3108689607                      ; 0xb94ad6c7
	.long	708259891                       ; 0x2a373033
	.long	2911760834                      ; 0xad8df1c2
	.long	3378423016                      ; 0xc95ea4e8
	;; [unrolled: 1-line block ×6, first 2 shown]
	.long	258077235                       ; 0xf61f233
	.long	3071875976                      ; 0xb7191b88
	.long	240688930                       ; 0xe589f22
	.long	3815218922                      ; 0xe3679eea
	.long	4263328855                      ; 0xfe1d3c57
	.long	91332032                        ; 0x5719dc0
	.long	941306162                       ; 0x381b3132
	.long	2464278288                      ; 0x92e1e710
	.long	3018835600                      ; 0xb3efc690
	;; [unrolled: 1-line block ×4, first 2 shown]
	.long	24726067                        ; 0x1794a33
	.long	3025656863                      ; 0xb457dc1f
	.long	368313673                       ; 0x15f40549
	.long	257301433                       ; 0xf561bb9
	.long	3097408183                      ; 0xb89eb2b7
	.long	461428710                       ; 0x1b80d7e6
	.long	2449005423                      ; 0x91f8db6f
	.long	3690066046                      ; 0xdbf1f07e
	;; [unrolled: 1-line block ×3, first 2 shown]
	.long	907095008                       ; 0x36112be0
	.long	428073188                       ; 0x1983e0e4
	.long	1938061314                      ; 0x73847802
	.long	2274317748                      ; 0x878f55b4
	;; [unrolled: 1-line block ×3, first 2 shown]
	.long	346999411                       ; 0x14aeca73
	.long	990247709                       ; 0x3b05fb1d
	.long	1630488660                      ; 0x612f4854
	.long	1584471638                      ; 0x5e711e56
	;; [unrolled: 1-line block ×6, first 2 shown]
	.long	473837206                       ; 0x1c3e2e96
	.long	3608227467                      ; 0xd7112e8b
	.long	1610069434                      ; 0x5ff7b5ba
	;; [unrolled: 1-line block ×4, first 2 shown]
	.long	391171548                       ; 0x1750cddc
	.long	825197245                       ; 0x312f82bd
	.long	3614258069                      ; 0xd76d3395
	.long	174125899                       ; 0xa60f34b
	.long	4113855120                      ; 0xf5347290
	.long	2095676907                      ; 0x7ce97deb
	.long	167881680                       ; 0xa01abd0
	.long	4115219971                      ; 0xf5494603
	.long	3187664453                      ; 0xbdffe645
	;; [unrolled: 1-line block ×6, first 2 shown]
	.long	388172915                       ; 0x17230c73
	.long	1125615727                      ; 0x4317886f
	.long	3158677395                      ; 0xbc459793
	.long	223946687                       ; 0xd5927bf
	.long	859388069                       ; 0x333938a5
	;; [unrolled: 1-line block ×3, first 2 shown]
	.long	4134747901                      ; 0xf6733efd
	.long	4017781965                      ; 0xef7a7ccd
	.long	722598357                       ; 0x2b11f9d5
	.long	783302897                       ; 0x2eb040f1
	;; [unrolled: 1-line block ×3, first 2 shown]
	.long	1295821322                      ; 0x4d3caa0a
	.long	3908594844                      ; 0xe8f86c9c
	;; [unrolled: 1-line block ×11, first 2 shown]
	.long	638075690                       ; 0x2608432a
	.long	1427210741                      ; 0x551181f5
	.long	2251144849                      ; 0x862dbe91
	;; [unrolled: 1-line block ×6, first 2 shown]
	.long	73007125                        ; 0x45a0015
	.long	2746034685                      ; 0xa3ad29fd
	.long	2078139227                      ; 0x7bdde35b
	.long	1974062189                      ; 0x75a9cc6d
	.long	3065859797                      ; 0xb6bd4ed5
	.long	2729117517                      ; 0xa2ab074d
	.long	3004993826                      ; 0xb31c9122
	.long	2045843139                      ; 0x79f116c3
	.long	772058252                       ; 0x2e04ac8c
	.long	36092756                        ; 0x226bb54
	.long	3343221736                      ; 0xc74583e8
	.long	4089112489                      ; 0xf3bae7a9
	;; [unrolled: 1-line block ×6, first 2 shown]
	.long	811825474                       ; 0x30637942
	.long	4089105370                      ; 0xf3bacbda
	.long	1822881146                      ; 0x6ca6f57a
	.long	4135459720                      ; 0xf67e1b88
	.long	2485576001                      ; 0x9426e141
	.long	468898217                       ; 0x1bf2d1a9
	.long	1722559700                      ; 0x66ac2cd4
	.long	3429640856                      ; 0xcc6c2a98
	.long	1392696606                      ; 0x5302dd1e
	.long	2271486862                      ; 0x8764238e
	;; [unrolled: 5-line block ×3, first 2 shown]
	.long	2992525399                      ; 0xb25e5057
	.long	2107053637                      ; 0x7d971645
	;; [unrolled: 1-line block ×13, first 2 shown]
	.long	270743120                       ; 0x10233650
	.long	344033794                       ; 0x14818a02
	;; [unrolled: 1-line block ×3, first 2 shown]
	.long	2595474066                      ; 0x9ab3ca92
	.long	3143800435                      ; 0xbb629673
	.long	986127123                       ; 0x3ac71b13
	.long	1849659590                      ; 0x6e3f90c6
	.long	3153502700                      ; 0xbbf6a1ec
	.long	601607977                       ; 0x23dbcf29
	.long	2334441739                      ; 0x8b24c10b
	.long	437034992                       ; 0x1a0c9ff0
	.long	3559496104                      ; 0xd42999a8
	.long	1674050253                      ; 0x63c7facd
	.long	1805619463                      ; 0x6b9f9107
	.long	455274178                       ; 0x1b22eec2
	.long	956939381                       ; 0x3909bc75
	.long	1583197657                      ; 0x5e5dadd9
	.long	141452045                       ; 0x86e630d
	.long	2383327493                      ; 0x8e0eb105
	.long	1520979444                      ; 0x5aa84df4
	;; [unrolled: 1-line block ×12, first 2 shown]
	.long	708259891                       ; 0x2a373033
	.long	2911760834                      ; 0xad8df1c2
	.long	3378423016                      ; 0xc95ea4e8
	;; [unrolled: 1-line block ×6, first 2 shown]
	.long	258077235                       ; 0xf61f233
	.long	3071875976                      ; 0xb7191b88
	.long	513762712                       ; 0x1e9f6598
	.long	3815218922                      ; 0xe3679eea
	.long	4263328855                      ; 0xfe1d3c57
	.long	91332032                        ; 0x5719dc0
	.long	941306162                       ; 0x381b3132
	.long	3000922309                      ; 0xb2de70c5
	.long	3018835600                      ; 0xb3efc690
	;; [unrolled: 1-line block ×4, first 2 shown]
	.long	24726067                        ; 0x1794a33
	.long	3626352172                      ; 0xd825be2c
	.long	368313673                       ; 0x15f40549
	.long	257301433                       ; 0xf561bb9
	.long	3097408183                      ; 0xb89eb2b7
	.long	461428710                       ; 0x1b80d7e6
	.long	2370224855                      ; 0x8d46c2d7
	.long	3690066046                      ; 0xdbf1f07e
	;; [unrolled: 1-line block ×3, first 2 shown]
	.long	907095008                       ; 0x36112be0
	.long	428073188                       ; 0x1983e0e4
	.long	2279237523                      ; 0x87da6793
	.long	2274317748                      ; 0x878f55b4
	;; [unrolled: 1-line block ×3, first 2 shown]
	.long	346999411                       ; 0x14aeca73
	.long	990247709                       ; 0x3b05fb1d
	.long	896290404                       ; 0x356c4e64
	.long	1584471638                      ; 0x5e711e56
	.long	1466763688                      ; 0x576d09a8
	;; [unrolled: 1-line block ×5, first 2 shown]
	.long	473837206                       ; 0x1c3e2e96
	.long	3608227467                      ; 0xd7112e8b
	.long	1610069434                      ; 0x5ff7b5ba
	;; [unrolled: 1-line block ×4, first 2 shown]
	.long	391171548                       ; 0x1750cddc
	.long	825197245                       ; 0x312f82bd
	.long	3614258069                      ; 0xd76d3395
	.long	174125899                       ; 0xa60f34b
	.long	2940674123                      ; 0xaf47204b
	.long	2095676907                      ; 0x7ce97deb
	.long	167881680                       ; 0xa01abd0
	.long	4115219971                      ; 0xf5494603
	;; [unrolled: 3-line block ×3, first 2 shown]
	.long	1971633162                      ; 0x7584bc0a
	.long	2144945539                      ; 0x7fd94583
	.long	388172915                       ; 0x17230c73
	.long	4041481385                      ; 0xf0e41ca9
	.long	3158677395                      ; 0xbc459793
	.long	223946687                       ; 0xd5927bf
	.long	859388069                       ; 0x333938a5
	;; [unrolled: 1-line block ×3, first 2 shown]
	.long	3094936989                      ; 0xb878fd9d
	.long	4017781965                      ; 0xef7a7ccd
	.long	722598357                       ; 0x2b11f9d5
	.long	783302897                       ; 0x2eb040f1
	;; [unrolled: 1-line block ×3, first 2 shown]
	.long	4078350595                      ; 0xf316b103
	.long	2002159085                      ; 0x775685ed
	;; [unrolled: 1-line block ×10, first 2 shown]
	.long	392203913                       ; 0x17608e89
	.long	970480700                       ; 0x39d85c3c
	.long	1611278056                      ; 0x600a26e8
	.long	1212903807                      ; 0x484b717f
	.long	85815670                        ; 0x51d7176
	.long	2398261756                      ; 0x8ef291fc
	.long	1052760308                      ; 0x3ebfd8f4
	.long	175807153                       ; 0xa7a9ab1
	.long	2617028873                      ; 0x9bfcb109
	.long	1862087601                      ; 0x6efd33b1
	;; [unrolled: 1-line block ×4, first 2 shown]
	.long	141863380                       ; 0x874a9d4
	.long	2090619424                      ; 0x7c9c5220
	.long	3994019338                      ; 0xee0fe60a
	;; [unrolled: 1-line block ×7, first 2 shown]
	.long	145789343                       ; 0x8b0919f
	.long	214170401                       ; 0xcc3fb21
	.long	2926373126                      ; 0xae6ce906
	.long	3858640613                      ; 0xe5fe2ee5
	;; [unrolled: 1-line block ×3, first 2 shown]
	.long	459887603                       ; 0x1b6953f3
	.long	2117474937                      ; 0x7e361a79
	.long	2514234285                      ; 0x95dc2bad
	;; [unrolled: 1-line block ×7, first 2 shown]
	.long	563029256                       ; 0x218f2508
	.long	28681425                        ; 0x1b5a4d1
	.long	446949770                       ; 0x1aa3e98a
	.long	3498545218                      ; 0xd0879042
	.long	435874305                       ; 0x19faea01
	.long	3448653884                      ; 0xcd8e483c
	;; [unrolled: 2-line block ×3, first 2 shown]
	.long	4211345429                      ; 0xfb040815
	.long	971855563                       ; 0x39ed56cb
	.long	1475394960                      ; 0x57f0bd90
	.long	3401692834                      ; 0xcac1b6a2
	.long	167361776                       ; 0x9f9bcf0
	.long	496249436                       ; 0x1d942a5c
	.long	1465278889                      ; 0x575661a9
	.long	780336162                       ; 0x2e82fc22
	.long	2108770597                      ; 0x7db14925
	.long	1806981510                      ; 0x6bb45986
	;; [unrolled: 1-line block ×4, first 2 shown]
	.long	16399665                        ; 0xfa3d31
	.long	2747394159                      ; 0xa3c1e86f
	.long	2098019492                      ; 0x7d0d3ca4
	;; [unrolled: 1-line block ×7, first 2 shown]
	.long	959676917                       ; 0x393381f5
	.long	3091540766                      ; 0xb8452b1e
	.long	1626192266                      ; 0x60edb98a
	.long	780987350                       ; 0x2e8cebd6
	.long	1102963422                      ; 0x41bde2de
	.long	2507002232                      ; 0x956dd178
	.long	691766944                       ; 0x293b86a0
	.long	193328868                       ; 0xb85f6e4
	;; [unrolled: 1-line block ×3, first 2 shown]
	.long	2384820612                      ; 0x8e257984
	.long	3149668778                      ; 0xbbbc21aa
	;; [unrolled: 1-line block ×4, first 2 shown]
	.long	893819979                       ; 0x35469c4b
	.long	2572584243                      ; 0x99568533
	.long	216077070                       ; 0xce1130e
	.long	1267249886                      ; 0x4b88b2de
	.long	2572508880                      ; 0x99555ed0
	;; [unrolled: 1-line block ×5, first 2 shown]
	.long	209783612                       ; 0xc810b3c
	.long	765896849                       ; 0x2da6a891
	.long	3617020328                      ; 0xd79759a8
	.long	3488800100                      ; 0xcff2dd64
	;; [unrolled: 1-line block ×4, first 2 shown]
	.long	963275857                       ; 0x396a6c51
	.long	3563488318                      ; 0xd466843e
	.long	1865487834                      ; 0x6f3115da
	.long	480006810                       ; 0x1c9c529a
	.long	18562439                        ; 0x11b3d87
	.long	1025913188                      ; 0x3d263164
	.long	3368592397                      ; 0xc8c8a40d
	.long	374648713                       ; 0x1654af89
	.long	2421713724                      ; 0x90586b3c
	.long	2705651398                      ; 0xa144f6c6
	;; [unrolled: 1-line block ×7, first 2 shown]
	.long	862934481                       ; 0x336f55d1
	.long	3624479194                      ; 0xd80929da
	.long	3574284465                      ; 0xd50b40b1
	;; [unrolled: 1-line block ×10, first 2 shown]
	.long	697729046                       ; 0x29968016
	.long	886223984                       ; 0x34d2b470
	.long	2196986730                      ; 0x82f35b6a
	.long	1157617208                      ; 0x44ffd638
	;; [unrolled: 1-line block ×3, first 2 shown]
	.long	398452318                       ; 0x17bfe65e
	.long	3523714364                      ; 0xd2079d3c
	.long	613570866                       ; 0x24925932
	.long	2962430983                      ; 0xb0931c07
	.long	1408814780                      ; 0x53f8cebc
	.long	892117129                       ; 0x352ca089
	.long	4173164219                      ; 0xf8bd6ebb
	.long	3894076479                      ; 0xe81ae43f
	;; [unrolled: 1-line block ×3, first 2 shown]
	.long	555734931                       ; 0x211fd793
	.long	1869034419                      ; 0x6f6733b3
	.long	336114876                       ; 0x1408b4bc
	.long	3142554871                      ; 0xbb4f94f7
	.long	3349604636                      ; 0xc7a6e91c
	.long	3450290892                      ; 0xcda742cc
	.long	955122895                       ; 0x38ee04cf
	.long	2202902910                      ; 0x834da17e
	.long	2558366468                      ; 0x987d9304
	;; [unrolled: 4-line block ×3, first 2 shown]
	.long	2285857699                      ; 0x883f6ba3
	.long	880475184                       ; 0x347afc30
	.long	958651279                       ; 0x3923db8f
	;; [unrolled: 1-line block ×3, first 2 shown]
	.long	3842420528                      ; 0xe506af30
	.long	1568559789                      ; 0x5d7e52ad
	;; [unrolled: 1-line block ×5, first 2 shown]
	.long	575494427                       ; 0x224d591b
	.long	2773243709                      ; 0xa54c573d
	.long	4009191487                      ; 0xeef7683f
	;; [unrolled: 1-line block ×10, first 2 shown]
	.long	889352935                       ; 0x350272e7
	.long	628666312                       ; 0x2578afc8
	;; [unrolled: 1-line block ×3, first 2 shown]
	.long	2949092155                      ; 0xafc7933b
	.long	1116804589                      ; 0x429115ed
	.long	998930334                       ; 0x3b8a779e
	.long	4144153491                      ; 0xf702c393
	.long	4191022348                      ; 0xf9cded0c
	.long	9022505                         ; 0x89ac29
	.long	4033326555                      ; 0xf067addb
	.long	2329569601                      ; 0x8ada6941
	.long	824756145                       ; 0x3128c7b1
	.long	3501916851                      ; 0xd0bb02b3
	.long	1481410328                      ; 0x584c8718
	;; [unrolled: 1-line block ×9, first 2 shown]
	.long	280282398                       ; 0x10b4c51e
	.long	3262135457                      ; 0xc2703ca1
	.long	4055383786                      ; 0xf1b83eea
	.long	28522973                        ; 0x1b339dd
	.long	1100901182                      ; 0x419e6b3e
	.long	4048609665                      ; 0xf150e181
	.long	994490185                       ; 0x3b46b749
	.long	2888527367                      ; 0xac2b6e07
	.long	3591919750                      ; 0xd6185886
	.long	65093467                        ; 0x3e13f5b
	.long	399797207                       ; 0x17d46bd7
	.long	3377740861                      ; 0xc9543c3d
	.long	3103183487                      ; 0xb8f6d27f
	;; [unrolled: 1-line block ×3, first 2 shown]
	.long	866353724                       ; 0x33a3823c
	.long	3847992271                      ; 0xe55bb3cf
	.long	2821933890                      ; 0xa8334b42
	;; [unrolled: 1-line block ×5, first 2 shown]
	.long	636444475                       ; 0x25ef5f3b
	.long	2465430290                      ; 0x92f37b12
	.long	2440306765                      ; 0x9174204d
	;; [unrolled: 1-line block ×4, first 2 shown]
	.long	43843628                        ; 0x29d002c
	.long	518479547                       ; 0x1ee75ebb
	.long	3708355608                      ; 0xdd090418
	.long	2313400729                      ; 0x89e3b199
	;; [unrolled: 1-line block ×5, first 2 shown]
	.long	524168411                       ; 0x1f3e2cdb
	.long	2580824843                      ; 0x99d4430b
	.long	2687886610                      ; 0xa035e512
	.long	785942949                       ; 0x2ed889a5
	.long	2624395631                      ; 0x9c6d196f
	.long	3713348903                      ; 0xdd553527
	;; [unrolled: 1-line block ×7, first 2 shown]
	.long	382688861                       ; 0x16cf5e5d
	.long	2843792951                      ; 0xa980d637
	.long	39122499                        ; 0x254f643
	.long	2765954033                      ; 0xa4dd1bf1
	.long	3033237617                      ; 0xb4cb8871
	.long	784228054                       ; 0x2ebe5ed6
	.long	1680611136                      ; 0x642c1740
	.long	2306036746                      ; 0x8973540a
	.long	892707919                       ; 0x3535a44f
	.long	3825738103                      ; 0xe4082177
	.long	1289362844                      ; 0x4cda1d9c
	;; [unrolled: 1-line block ×3, first 2 shown]
	.long	484526950                       ; 0x1ce14b66
	.long	178560970                       ; 0xaa49fca
	.long	1863413515                      ; 0x6f116f0b
	.long	71290794                        ; 0x43fcfaa
	.long	1716785670                      ; 0x66541206
	.long	3881310302                      ; 0xe758185e
	;; [unrolled: 1-line block ×8, first 2 shown]
	.long	738699928                       ; 0x2c07aa98
	.long	2244576791                      ; 0x85c98617
	.long	1833964269                      ; 0x6d5012ed
	;; [unrolled: 1-line block ×6, first 2 shown]
	.long	674208214                       ; 0x282f99d6
	.long	587191877                       ; 0x22ffd645
	;; [unrolled: 1-line block ×3, first 2 shown]
	.long	1639419136                      ; 0x61b78d00
	.long	2742744205                      ; 0xa37af48d
	.long	2556530506                      ; 0x98618f4a
	.long	3764115510                      ; 0xe05bd836
	.long	861410771                       ; 0x335815d3
	.long	3473658359                      ; 0xcf0bd1f7
	.long	2879790483                      ; 0xaba61d93
	;; [unrolled: 1-line block ×6, first 2 shown]
	.long	480532790                       ; 0x1ca45936
	.long	2926891626                      ; 0xae74d26a
	.long	1366888524                      ; 0x5179104c
	;; [unrolled: 1-line block ×3, first 2 shown]
	.long	620045088                       ; 0x24f52320
	.long	2279182738                      ; 0x87d99192
	.long	2479688463                      ; 0x93cd0b0f
	.long	427385986                       ; 0x19796482
	.long	271096497                       ; 0x10289ab1
	.long	1999040724                      ; 0x7726f0d4
	.long	1980388138                      ; 0x760a532a
	;; [unrolled: 1-line block ×13, first 2 shown]
	.long	665795763                       ; 0x27af3cb3
	.long	3869868300                      ; 0xe6a9810c
	.long	4033135159                      ; 0xf064c237
	.long	2589983679                      ; 0x9a6003bf
	.long	682593183                       ; 0x28af8b9f
	.long	1254600537                      ; 0x4ac7af59
	.long	1701095863                      ; 0x6564a9b7
	.long	3738080583                      ; 0xdece9547
	;; [unrolled: 4-line block ×3, first 2 shown]
	.long	466053171                       ; 0x1bc76833
	.long	2320346625                      ; 0x8a4dae01
	.long	485850108                       ; 0x1cf57bfc
	.long	1279183025                      ; 0x4c3ec8b1
	;; [unrolled: 2-line block ×3, first 2 shown]
	.long	228799661                       ; 0xda334ad
	.long	575494427                       ; 0x224d591b
	.long	2773243709                      ; 0xa54c573d
	.long	4009191487                      ; 0xeef7683f
	;; [unrolled: 1-line block ×8, first 2 shown]
	.long	303018213                       ; 0x120fb0e5
	.long	2939203697                      ; 0xaf30b071
	.long	889352935                       ; 0x350272e7
	.long	628666312                       ; 0x2578afc8
	;; [unrolled: 1-line block ×4, first 2 shown]
	.long	1116804589                      ; 0x429115ed
	.long	998930334                       ; 0x3b8a779e
	.long	4144153491                      ; 0xf702c393
	.long	4191022348                      ; 0xf9cded0c
	;; [unrolled: 1-line block ×5, first 2 shown]
	.long	824756145                       ; 0x3128c7b1
	.long	3501916851                      ; 0xd0bb02b3
	.long	3512382126                      ; 0xd15ab2ae
	;; [unrolled: 1-line block ×9, first 2 shown]
	.long	280282398                       ; 0x10b4c51e
	.long	3262135457                      ; 0xc2703ca1
	.long	416160861                       ; 0x18ce1c5d
	.long	28522973                        ; 0x1b339dd
	.long	1100901182                      ; 0x419e6b3e
	.long	4048609665                      ; 0xf150e181
	.long	994490185                       ; 0x3b46b749
	.long	2206150488                      ; 0x837f2f58
	.long	3591919750                      ; 0xd6185886
	.long	65093467                        ; 0x3e13f5b
	.long	399797207                       ; 0x17d46bd7
	.long	3377740861                      ; 0xc9543c3d
	.long	3954301001                      ; 0xebb1d849
	;; [unrolled: 1-line block ×3, first 2 shown]
	.long	866353724                       ; 0x33a3823c
	.long	3847992271                      ; 0xe55bb3cf
	.long	2821933890                      ; 0xa8334b42
	.long	482325742                       ; 0x1cbfb4ee
	.long	1702442928                      ; 0x657937b0
	.long	1271285504                      ; 0x4bc64700
	.long	636444475                       ; 0x25ef5f3b
	.long	2465430290                      ; 0x92f37b12
	.long	476965483                       ; 0x1c6dea6b
	.long	2651443172                      ; 0x9e09cfe4
	.long	2895101023                      ; 0xac8fbc5f
	.long	43843628                        ; 0x29d002c
	.long	518479547                       ; 0x1ee75ebb
	.long	2354104222                      ; 0x8c50c79e
	.long	2313400729                      ; 0x89e3b199
	;; [unrolled: 1-line block ×8, first 2 shown]
	.long	785942949                       ; 0x2ed889a5
	.long	2624395631                      ; 0x9c6d196f
	.long	3219885224                      ; 0xbfeb8ca8
	;; [unrolled: 1-line block ×7, first 2 shown]
	.long	382688861                       ; 0x16cf5e5d
	.long	2843792951                      ; 0xa980d637
	.long	39122499                        ; 0x254f643
	.long	2765954033                      ; 0xa4dd1bf1
	.long	2870716981                      ; 0xab1baa35
	.long	784228054                       ; 0x2ebe5ed6
	.long	1680611136                      ; 0x642c1740
	.long	2306036746                      ; 0x8973540a
	.long	892707919                       ; 0x3535a44f
	.long	2648492467                      ; 0x9ddcc9b3
	.long	1289362844                      ; 0x4cda1d9c
	;; [unrolled: 1-line block ×3, first 2 shown]
	.long	484526950                       ; 0x1ce14b66
	.long	178560970                       ; 0xaa49fca
	.long	3047404165                      ; 0xb5a3b285
	.long	71290794                        ; 0x43fcfaa
	.long	1716785670                      ; 0x66541206
	.long	3881310302                      ; 0xe758185e
	;; [unrolled: 1-line block ×13, first 2 shown]
	.long	655108124                       ; 0x270c281c
	.long	2334116476                      ; 0x8b1fca7c
	.long	674208214                       ; 0x282f99d6
	.long	587191877                       ; 0x22ffd645
	;; [unrolled: 1-line block ×3, first 2 shown]
	.long	1403491312                      ; 0x53a793f0
	.long	2742744205                      ; 0xa37af48d
	;; [unrolled: 1-line block ×4, first 2 shown]
	.long	861410771                       ; 0x335815d3
	.long	2748819627                      ; 0xa3d7a8ab
	.long	2879790483                      ; 0xaba61d93
	;; [unrolled: 1-line block ×6, first 2 shown]
	.long	480532790                       ; 0x1ca45936
	.long	2926891626                      ; 0xae74d26a
	.long	1366888524                      ; 0x5179104c
	;; [unrolled: 1-line block ×3, first 2 shown]
	.long	691077353                       ; 0x293100e9
	.long	2279182738                      ; 0x87d99192
	.long	2479688463                      ; 0x93cd0b0f
	.long	427385986                       ; 0x19796482
	.long	271096497                       ; 0x10289ab1
	;; [unrolled: 1-line block ×3, first 2 shown]
	.long	1980388138                      ; 0x760a532a
	.long	3104550456                      ; 0xb90bae38
	;; [unrolled: 1-line block ×4, first 2 shown]
	.long	717953620                       ; 0x2acb1a54
	.long	4020221165                      ; 0xef9fb4ed
	.long	2567325850                      ; 0x9906489a
	;; [unrolled: 1-line block ×4, first 2 shown]
	.long	588189150                       ; 0x230f0dde
	.long	2395930109                      ; 0x8ecefdfd
	.long	1867061176                      ; 0x6f4917b8
	.long	665795763                       ; 0x27af3cb3
	.long	3869868300                      ; 0xe6a9810c
	.long	2245339306                      ; 0x85d528aa
	.long	2589983679                      ; 0x9a6003bf
	.long	682593183                       ; 0x28af8b9f
	.long	1254600537                      ; 0x4ac7af59
	;; [unrolled: 4-line block ×3, first 2 shown]
	.long	1866531599                      ; 0x6f41030f
	.long	1317004965                      ; 0x4e7fe6a5
	;; [unrolled: 1-line block ×4, first 2 shown]
	.long	485850108                       ; 0x1cf57bfc
	.long	1279183025                      ; 0x4c3ec8b1
	.long	423884362                       ; 0x1943f64a
	.long	1310342080                      ; 0x4e1a3bc0
	.long	228799661                       ; 0xda334ad
	.long	575494427                       ; 0x224d591b
	.long	2773243709                      ; 0xa54c573d
	.long	4009191487                      ; 0xeef7683f
	.long	3178129190                      ; 0xbd6e6726
	.long	1392246100                      ; 0x52fbfd54
	.long	1328043370                      ; 0x4f28556a
	.long	1407136778                      ; 0x53df340a
	.long	3204434425                      ; 0xbeffc9f9
	.long	558594993                       ; 0x214b7bb1
	.long	303018213                       ; 0x120fb0e5
	.long	2939203697                      ; 0xaf30b071
	.long	889352935                       ; 0x350272e7
	.long	628666312                       ; 0x2578afc8
	.long	3995857198                      ; 0xee2bf12e
	.long	691563049                       ; 0x29386a29
	.long	1116804589                      ; 0x429115ed
	;; [unrolled: 2-line block ×3, first 2 shown]
	.long	2375099047                      ; 0x8d9122a7
	.long	2882458100                      ; 0xabced1f4
	;; [unrolled: 1-line block ×4, first 2 shown]
	.long	824756145                       ; 0x3128c7b1
	.long	3031828205                      ; 0xb4b606ed
	.long	3512382126                      ; 0xd15ab2ae
	;; [unrolled: 1-line block ×9, first 2 shown]
	.long	280282398                       ; 0x10b4c51e
	.long	2438973535                      ; 0x915fc85f
	.long	416160861                       ; 0x18ce1c5d
	.long	28522973                        ; 0x1b339dd
	.long	1100901182                      ; 0x419e6b3e
	.long	4048609665                      ; 0xf150e181
	;; [unrolled: 1-line block ×5, first 2 shown]
	.long	65093467                        ; 0x3e13f5b
	.long	399797207                       ; 0x17d46bd7
	.long	183644195                       ; 0xaf23023
	.long	3954301001                      ; 0xebb1d849
	.long	3696509979                      ; 0xdc54441b
	.long	866353724                       ; 0x33a3823c
	.long	3847992271                      ; 0xe55bb3cf
	.long	1244421011                      ; 0x4a2c5b93
	;; [unrolled: 3-line block ×3, first 2 shown]
	.long	636444475                       ; 0x25ef5f3b
	.long	3659422961                      ; 0xda1e5cf1
	.long	476965483                       ; 0x1c6dea6b
	.long	2651443172                      ; 0x9e09cfe4
	.long	2895101023                      ; 0xac8fbc5f
	.long	43843628                        ; 0x29d002c
	.long	2230230933                      ; 0x84ee9f95
	.long	2354104222                      ; 0x8c50c79e
	;; [unrolled: 1-line block ×9, first 2 shown]
	.long	785942949                       ; 0x2ed889a5
	.long	126345381                       ; 0x787e0a5
	.long	3219885224                      ; 0xbfeb8ca8
	.long	4104123478                      ; 0xf49ff456
	;; [unrolled: 1-line block ×6, first 2 shown]
	.long	382688861                       ; 0x16cf5e5d
	.long	2843792951                      ; 0xa980d637
	.long	39122499                        ; 0x254f643
	.long	3527484969                      ; 0xd2412629
	.long	2870716981                      ; 0xab1baa35
	.long	784228054                       ; 0x2ebe5ed6
	.long	1680611136                      ; 0x642c1740
	.long	2306036746                      ; 0x8973540a
	;; [unrolled: 1-line block ×6, first 2 shown]
	.long	484526950                       ; 0x1ce14b66
	.long	3730796296                      ; 0xde5f6f08
	.long	3047404165                      ; 0xb5a3b285
	.long	71290794                        ; 0x43fcfaa
	.long	1716785670                      ; 0x66541206
	.long	3881310302                      ; 0xe758185e
	;; [unrolled: 1-line block ×13, first 2 shown]
	.long	655108124                       ; 0x270c281c
	.long	2334116476                      ; 0x8b1fca7c
	.long	674208214                       ; 0x282f99d6
	.long	587191877                       ; 0x22ffd645
	.long	1531247446                      ; 0x5b44fb56
	.long	1403491312                      ; 0x53a793f0
	;; [unrolled: 1-line block ×12, first 2 shown]
	.long	480532790                       ; 0x1ca45936
	.long	2926891626                      ; 0xae74d26a
	.long	1366888524                      ; 0x5179104c
	;; [unrolled: 1-line block ×3, first 2 shown]
	.long	691077353                       ; 0x293100e9
	.long	2279182738                      ; 0x87d99192
	.long	2479688463                      ; 0x93cd0b0f
	.long	427385986                       ; 0x19796482
	.long	3906690631                      ; 0xe8db5e47
	.long	357444234                       ; 0x154e2a8a
	.long	1980388138                      ; 0x760a532a
	.long	3104550456                      ; 0xb90bae38
	;; [unrolled: 1-line block ×4, first 2 shown]
	.long	717953620                       ; 0x2acb1a54
	.long	4020221165                      ; 0xef9fb4ed
	.long	2567325850                      ; 0x9906489a
	;; [unrolled: 1-line block ×4, first 2 shown]
	.long	588189150                       ; 0x230f0dde
	.long	2395930109                      ; 0x8ecefdfd
	.long	1867061176                      ; 0x6f4917b8
	.long	665795763                       ; 0x27af3cb3
	.long	1735147895                      ; 0x676c4177
	.long	2245339306                      ; 0x85d528aa
	.long	2589983679                      ; 0x9a6003bf
	.long	682593183                       ; 0x28af8b9f
	.long	1254600537                      ; 0x4ac7af59
	;; [unrolled: 4-line block ×3, first 2 shown]
	.long	1866531599                      ; 0x6f41030f
	.long	1751783137                      ; 0x686a16e1
	;; [unrolled: 1-line block ×4, first 2 shown]
	.long	485850108                       ; 0x1cf57bfc
	.long	1279183025                      ; 0x4c3ec8b1
	.long	149835864                       ; 0x8ee5058
	.long	1310342080                      ; 0x4e1a3bc0
	.long	228799661                       ; 0xda334ad
	.long	575494427                       ; 0x224d591b
	.long	2773243709                      ; 0xa54c573d
	.long	1505829825                      ; 0x59c123c1
	;; [unrolled: 1-line block ×6, first 2 shown]
	.long	856233019                       ; 0x3309143b
	.long	558594993                       ; 0x214b7bb1
	;; [unrolled: 1-line block ×3, first 2 shown]
	.long	2939203697                      ; 0xaf30b071
	.long	889352935                       ; 0x350272e7
	.long	625515593                       ; 0x25489c49
	.long	3995857198                      ; 0xee2bf12e
	.long	691563049                       ; 0x29386a29
	.long	1116804589                      ; 0x429115ed
	;; [unrolled: 2-line block ×3, first 2 shown]
	.long	2375099047                      ; 0x8d9122a7
	.long	2882458100                      ; 0xabced1f4
	;; [unrolled: 1-line block ×16, first 2 shown]
	.long	416160861                       ; 0x18ce1c5d
	.long	28522973                        ; 0x1b339dd
	.long	1100901182                      ; 0x419e6b3e
	.long	3534874298                      ; 0xd2b1e6ba
	;; [unrolled: 1-line block ×5, first 2 shown]
	.long	65093467                        ; 0x3e13f5b
	.long	2231373121                      ; 0x85000d41
	.long	183644195                       ; 0xaf23023
	.long	3954301001                      ; 0xebb1d849
	.long	3696509979                      ; 0xdc54441b
	.long	866353724                       ; 0x33a3823c
	.long	1479968372                      ; 0x58368674
	;; [unrolled: 3-line block ×3, first 2 shown]
	.long	1271285504                      ; 0x4bc64700
	.long	3834022401                      ; 0xe4868a01
	;; [unrolled: 1-line block ×3, first 2 shown]
	.long	476965483                       ; 0x1c6dea6b
	.long	2651443172                      ; 0x9e09cfe4
	.long	2895101023                      ; 0xac8fbc5f
	;; [unrolled: 1-line block ×12, first 2 shown]
	.long	895602439                       ; 0x3561cf07
	.long	126345381                       ; 0x787e0a5
	.long	3219885224                      ; 0xbfeb8ca8
	.long	4104123478                      ; 0xf49ff456
	;; [unrolled: 1-line block ×6, first 2 shown]
	.long	382688861                       ; 0x16cf5e5d
	.long	2843792951                      ; 0xa980d637
	.long	3076342354                      ; 0xb75d4252
	;; [unrolled: 1-line block ×4, first 2 shown]
	.long	784228054                       ; 0x2ebe5ed6
	.long	1680611136                      ; 0x642c1740
	.long	3667923304                      ; 0xdaa01168
	;; [unrolled: 1-line block ×9, first 2 shown]
	.long	71290794                        ; 0x43fcfaa
	.long	1716785670                      ; 0x66541206
	.long	995728648                       ; 0x3b599d08
	.long	4233965062                      ; 0xfc5d2e06
	.long	2439325884                      ; 0x916528bc
	;; [unrolled: 1-line block ×11, first 2 shown]
	.long	655108124                       ; 0x270c281c
	.long	2334116476                      ; 0x8b1fca7c
	.long	674208214                       ; 0x282f99d6
	.long	1154789946                      ; 0x44d4b23a
	.long	1531247446                      ; 0x5b44fb56
	;; [unrolled: 1-line block ×10, first 2 shown]
	.long	177853954                       ; 0xa99d602
	.long	1430402656                      ; 0x55423660
	.long	2646753562                      ; 0x9dc2411a
	.long	480532790                       ; 0x1ca45936
	.long	2926891626                      ; 0xae74d26a
	.long	3179057526                      ; 0xbd7c9176
	.long	1848714433                      ; 0x6e3124c1
	.long	691077353                       ; 0x293100e9
	.long	2279182738                      ; 0x87d99192
	.long	2479688463                      ; 0x93cd0b0f
	.long	1988854710                      ; 0x768b83b6
	.long	3906690631                      ; 0xe8db5e47
	.long	357444234                       ; 0x154e2a8a
	.long	1980388138                      ; 0x760a532a
	;; [unrolled: 5-line block ×4, first 2 shown]
	.long	1867061176                      ; 0x6f4917b8
	.long	2248975336                      ; 0x860ca3e8
	;; [unrolled: 1-line block ×5, first 2 shown]
	.long	682593183                       ; 0x28af8b9f
	.long	3087155398                      ; 0xb80240c6
	.long	1518037357                      ; 0x5a7b696d
	;; [unrolled: 1-line block ×3, first 2 shown]
	.long	369734429                       ; 0x1609b31d
	.long	2231641462                      ; 0x85042576
	.long	1858424931                      ; 0x6ec55063
	;; [unrolled: 1-line block ×5, first 2 shown]
	.long	485850108                       ; 0x1cf57bfc
	.long	2471611230                      ; 0x9351cb5e
	.long	107369761                       ; 0x6665521
	.long	2623559579                      ; 0x9c60579b
	.long	4256589070                      ; 0xfdb6650e
	.long	2365810185                      ; 0x8d036609
	.long	907910243                       ; 0x361d9c63
	.long	3901832478                      ; 0xe8913d1e
	.long	2068079364                      ; 0x7b446304
	;; [unrolled: 4-line block ×3, first 2 shown]
	.long	2618898012                      ; 0x9c19365c
	.long	600446000                       ; 0x23ca1430
	.long	788321632                       ; 0x2efcd560
	.long	4119629235                      ; 0xf58c8db3
	.long	2648781584                      ; 0x9de13310
	;; [unrolled: 1-line block ×3, first 2 shown]
	.long	171372782                       ; 0xa36f0ee
	.long	1789511950                      ; 0x6aa9c90e
	.long	2648296999                      ; 0x9dd9ce27
	;; [unrolled: 1-line block ×7, first 2 shown]
	.long	784021820                       ; 0x2ebb393c
	.long	1379044539                      ; 0x52328cbb
	.long	591935962                       ; 0x234839da
	.long	1638390839                      ; 0x61a7dc37
	.long	10832053                        ; 0xa548b5
	.long	3946625290                      ; 0xeb3cb90a
	.long	2916913801                      ; 0xaddc9289
	;; [unrolled: 1-line block ×5, first 2 shown]
	.long	19889234                        ; 0x12f7c52
	.long	1374364843                      ; 0x51eb24ab
	.long	571354125                       ; 0x220e2c0d
	.long	3357938719                      ; 0xc826141f
	.long	2337506269                      ; 0x8b5383dd
	.long	905453029                       ; 0x35f81de5
	.long	2504232400                      ; 0x95438dd0
	.long	258673393                       ; 0xf6b0af1
	.long	2590342355                      ; 0x9a657cd3
	.long	3308443353                      ; 0xc532d6d9
	;; [unrolled: 1-line block ×4, first 2 shown]
	.long	932545954                       ; 0x379585a2
	.long	509832408                       ; 0x1e636cd8
	;; [unrolled: 1-line block ×4, first 2 shown]
	.long	3434866166                      ; 0xccbbe5f6
	.long	1108455121                      ; 0x4211aed1
	;; [unrolled: 1-line block ×3, first 2 shown]
	.long	893446102                       ; 0x3540e7d6
	.long	3248197798                      ; 0xc19b90a6
	.long	1797985531                      ; 0x6b2b14fb
	;; [unrolled: 1-line block ×3, first 2 shown]
	.long	558601278                       ; 0x214b943e
	.long	1813674114                      ; 0x6c1a7882
	.long	311050994                       ; 0x128a42f2
	.long	425175161                       ; 0x1957a879
	.long	1125527204                      ; 0x43162ea4
	.long	1597986581                      ; 0x5f3f5715
	;; [unrolled: 1-line block ×12, first 2 shown]
	.long	274595185                       ; 0x105dfd71
	.long	1890506924                      ; 0x70aed8ac
	.long	2631794527                      ; 0x9cddff5f
	;; [unrolled: 1-line block ×15, first 2 shown]
	.long	179748891                       ; 0xab6c01b
	.long	2911159372                      ; 0xad84c44c
	.long	191101265                       ; 0xb63f951
	.long	3389843262                      ; 0xca0ce73e
	.long	3093358663                      ; 0xb860e847
	;; [unrolled: 1-line block ×9, first 2 shown]
	.long	806669884                       ; 0x3014ce3c
	.long	596300960                       ; 0x238ad4a0
	.long	1993055778                      ; 0x76cb9e22
	.long	1541809402                      ; 0x5be624fa
	;; [unrolled: 1-line block ×3, first 2 shown]
	.long	652348267                       ; 0x26e20b6b
	.long	3332532764                      ; 0xc6a26a1c
	.long	2656602623                      ; 0x9e5889ff
	;; [unrolled: 1-line block ×3, first 2 shown]
	.long	323260312                       ; 0x13448f98
	.long	3310408133                      ; 0xc550d1c5
	.long	4037617529                      ; 0xf0a92779
	.long	137297627                       ; 0x82efedb
	.long	1236501991                      ; 0x49b385e7
	.long	495817051                       ; 0x1d8d915b
	.long	481150309                       ; 0x1cadc565
	.long	3067841968                      ; 0xb6db8db0
	.long	3120347176                      ; 0xb9fcb828
	.long	714354848                       ; 0x2a9430a0
	.long	1554632062                      ; 0x5ca9cd7e
	.long	2522324107                      ; 0x96579c8b
	;; [unrolled: 1-line block ×9, first 2 shown]
	.long	829235089                       ; 0x316d1f91
	.long	2243153325                      ; 0x85b3cdad
	.long	2525168177                      ; 0x96830231
	;; [unrolled: 1-line block ×3, first 2 shown]
	.long	585653228                       ; 0x22e85bec
	.long	3288336688                      ; 0xc4000930
	.long	2734161045                      ; 0xa2f7fc95
	.long	30430534                        ; 0x1d05546
	.long	714492313                       ; 0x2a964999
	.long	2582732426                      ; 0x99f15e8a
	.long	595577790                       ; 0x237fcbbe
	.long	1463554287                      ; 0x573c10ef
	.long	1949506865                      ; 0x74331d31
	;; [unrolled: 1-line block ×6, first 2 shown]
	.long	319064177                       ; 0x13048871
	.long	2305067982                      ; 0x89648bce
	.long	3825716413                      ; 0xe407ccbd
	;; [unrolled: 1-line block ×3, first 2 shown]
	.long	108979478                       ; 0x67ee516
	.long	3089716545                      ; 0xb8295541
	.long	2921391708                      ; 0xae20e65c
	;; [unrolled: 1-line block ×14, first 2 shown]
	.long	618903690                       ; 0x24e3b88a
	.long	2475611092                      ; 0x938ed3d4
	.long	2621430634                      ; 0x9c3fdb6a
	;; [unrolled: 1-line block ×9, first 2 shown]
	.long	588281768                       ; 0x231077a8
	.long	3603925285                      ; 0xd6cf8925
	.long	1187721841                      ; 0x46cb3271
	;; [unrolled: 1-line block ×14, first 2 shown]
	.long	534637095                       ; 0x1fddea27
	.long	1860006723                      ; 0x6edd7343
	.long	3416402670                      ; 0xcba22aee
	.long	802354899                       ; 0x2fd2f6d3
	.long	3998709605                      ; 0xee577765
	.long	3944315555                      ; 0xeb197aa3
	;; [unrolled: 1-line block ×4, first 2 shown]
	.long	488532673                       ; 0x1d1e6ac1
	.long	3063734121                      ; 0xb69cdf69
	.long	1318974867                      ; 0x4e9df593
	.long	187087202                       ; 0xb26b962
	.long	200160693                       ; 0xbee35b5
	.long	4170479404                      ; 0xf894772c
	.long	782764886                       ; 0x2ea80b56
	.long	4007973657                      ; 0xeee4d319
	.long	1651636372                      ; 0x6271f894
	;; [unrolled: 1-line block ×5, first 2 shown]
	.long	230704223                       ; 0xdc0445f
	.long	3342587983                      ; 0xc73bd84f
	.long	1093085714                      ; 0x41272a12
	.long	683877298                       ; 0x28c323b2
	.long	3635026316                      ; 0xd8aa198c
	.long	3839461209                      ; 0xe4d98759
	;; [unrolled: 1-line block ×14, first 2 shown]
	.long	112739894                       ; 0x6b84636
	.long	4052025045                      ; 0xf184fed5
	.long	1396839113                      ; 0x534212c9
	.long	212349044                       ; 0xca83074
	.long	110706825                       ; 0x6994089
	.long	2185320852                      ; 0x82415994
	.long	2540909191                      ; 0x97733287
	;; [unrolled: 1-line block ×7, first 2 shown]
	.long	149304348                       ; 0x8e6341c
	.long	2755670869                      ; 0xa4403355
	.long	930137412                       ; 0x3770c544
	.long	350687475                       ; 0x14e710f3
	.long	1512442864                      ; 0x5a260bf0
	.long	3764389325                      ; 0xe06005cd
	;; [unrolled: 1-line block ×3, first 2 shown]
	.long	276147411                       ; 0x1075acd3
	.long	2268414314                      ; 0x8735416a
	.long	30674096                        ; 0x1d40cb0
	.long	3202650841                      ; 0xbee492d9
	.long	3446821592                      ; 0xcd7252d8
	;; [unrolled: 1-line block ×4, first 2 shown]
	.long	674361204                       ; 0x2831ef74
	.long	1384681012                      ; 0x52888e34
	.long	2716655878                      ; 0xa1ece106
	.long	454169262                       ; 0x1b1212ae
	.long	289282175                       ; 0x113e187f
	;; [unrolled: 1-line block ×3, first 2 shown]
	.long	3052791893                      ; 0xb5f5e855
	.long	3111969089                      ; 0xb97ce141
	;; [unrolled: 1-line block ×15, first 2 shown]
	.long	797579212                       ; 0x2f8a17cc
	.long	1645601877                      ; 0x6215e455
	.long	3579805998                      ; 0xd55f812e
	.long	797556690                       ; 0x2f89bfd2
	.long	4106236617                      ; 0xf4c032c9
	.long	1379943929                      ; 0x524045f9
	.long	129105346                       ; 0x7b1fdc2
	.long	3950170317                      ; 0xeb72d0cd
	.long	723231430                       ; 0x2b1ba2c6
	.long	88997404                        ; 0x54dfe1c
	.long	2591283275                      ; 0x9a73d84b
	.long	359831168                       ; 0x15729680
	.long	306903531                       ; 0x124af9eb
	.long	1987846974                      ; 0x767c233e
	.long	2654779951                      ; 0x9e3cba2f
	;; [unrolled: 1-line block ×17, first 2 shown]
	.long	575328723                       ; 0x224ad1d3
	.long	359319532                       ; 0x156ac7ec
	.long	2458971265                      ; 0x9290ec81
	.long	3159207510                      ; 0xbc4dae56
	.long	387883436                       ; 0x171ea1ac
	.long	2521400838                      ; 0x96498606
	.long	2359639886                      ; 0x8ca53f4e
	;; [unrolled: 3-line block ×3, first 2 shown]
	.long	2387198764                      ; 0x8e49c32c
	.long	3619233779                      ; 0xd7b91ff3
	;; [unrolled: 1-line block ×8, first 2 shown]
	.long	386502519                       ; 0x17098f77
	.long	2557524017                      ; 0x9870b831
	.long	1857180133                      ; 0x6eb251e5
	.long	618903690                       ; 0x24e3b88a
	.long	2475611092                      ; 0x938ed3d4
	.long	30080431                        ; 0x1cafdaf
	.long	2084292404                      ; 0x7c3bc734
	.long	1698607774                      ; 0x653eb29e
	;; [unrolled: 1-line block ×7, first 2 shown]
	.long	588281768                       ; 0x231077a8
	.long	3603925285                      ; 0xd6cf8925
	.long	238328161                       ; 0xe349961
	.long	1307962320                      ; 0x4df5ebd0
	.long	2562217840                      ; 0x98b85770
	;; [unrolled: 1-line block ×12, first 2 shown]
	.long	534637095                       ; 0x1fddea27
	.long	1860006723                      ; 0x6edd7343
	.long	652336168                       ; 0x26e1dc28
	.long	802354899                       ; 0x2fd2f6d3
	.long	3998709605                      ; 0xee577765
	.long	3944315555                      ; 0xeb197aa3
	;; [unrolled: 1-line block ×4, first 2 shown]
	.long	488532673                       ; 0x1d1e6ac1
	.long	3063734121                      ; 0xb69cdf69
	.long	1318974867                      ; 0x4e9df593
	.long	187087202                       ; 0xb26b962
	.long	1106075322                      ; 0x41ed5eba
	.long	4170479404                      ; 0xf894772c
	;; [unrolled: 3-line block ×3, first 2 shown]
	.long	2404132022                      ; 0x8f4c24b6
	.long	2085263921                      ; 0x7c4a9a31
	;; [unrolled: 1-line block ×3, first 2 shown]
	.long	230704223                       ; 0xdc0445f
	.long	3342587983                      ; 0xc73bd84f
	.long	918664020                       ; 0x36c1b354
	.long	683877298                       ; 0x28c323b2
	.long	3635026316                      ; 0xd8aa198c
	.long	3839461209                      ; 0xe4d98759
	;; [unrolled: 1-line block ×8, first 2 shown]
	.long	276593262                       ; 0x107c7a6e
	.long	3287828387                      ; 0xc3f847a3
	.long	1565768431                      ; 0x5d53baef
	;; [unrolled: 1-line block ×5, first 2 shown]
	.long	112739894                       ; 0x6b84636
	.long	4052025045                      ; 0xf184fed5
	.long	1396839113                      ; 0x534212c9
	.long	212349044                       ; 0xca83074
	.long	4056830215                      ; 0xf1ce5107
	.long	2185320852                      ; 0x82415994
	;; [unrolled: 1-line block ×8, first 2 shown]
	.long	149304348                       ; 0x8e6341c
	.long	2755670869                      ; 0xa4403355
	.long	3578672658                      ; 0xd54e3612
	.long	350687475                       ; 0x14e710f3
	.long	1512442864                      ; 0x5a260bf0
	.long	3764389325                      ; 0xe06005cd
	;; [unrolled: 1-line block ×5, first 2 shown]
	.long	30674096                        ; 0x1d40cb0
	.long	3202650841                      ; 0xbee492d9
	.long	3446821592                      ; 0xcd7252d8
	;; [unrolled: 1-line block ×4, first 2 shown]
	.long	674361204                       ; 0x2831ef74
	.long	1384681012                      ; 0x52888e34
	.long	2716655878                      ; 0xa1ece106
	;; [unrolled: 1-line block ×3, first 2 shown]
	.long	289282175                       ; 0x113e187f
	.long	966029495                       ; 0x399470b7
	.long	3052791893                      ; 0xb5f5e855
	.long	3111969089                      ; 0xb97ce141
	;; [unrolled: 1-line block ×7, first 2 shown]
	.long	558548232                       ; 0x214ac508
	.long	3337397349                      ; 0xc6eca465
	.long	2392730459                      ; 0x8e9e2b5b
	;; [unrolled: 1-line block ×7, first 2 shown]
	.long	797579212                       ; 0x2f8a17cc
	.long	1645601877                      ; 0x6215e455
	.long	1754284241                      ; 0x689040d1
	.long	797556690                       ; 0x2f89bfd2
	.long	4106236617                      ; 0xf4c032c9
	.long	1379943929                      ; 0x524045f9
	.long	129105346                       ; 0x7b1fdc2
	.long	1072954804                      ; 0x3ff3fdb4
	.long	723231430                       ; 0x2b1ba2c6
	.long	88997404                        ; 0x54dfe1c
	.long	2591283275                      ; 0x9a73d84b
	.long	359831168                       ; 0x15729680
	.long	3790749526                      ; 0xe1f23f56
	.long	1987846974                      ; 0x767c233e
	;; [unrolled: 1-line block ×5, first 2 shown]
	.long	529478744                       ; 0x1f8f3458
	.long	3586751806                      ; 0xd5c97d3e
	.long	2045807380                      ; 0x79f08b14
	;; [unrolled: 1-line block ×12, first 2 shown]
	.long	575328723                       ; 0x224ad1d3
	.long	359319532                       ; 0x156ac7ec
	.long	4185709932                      ; 0xf97cdd6c
	.long	3159207510                      ; 0xbc4dae56
	.long	387883436                       ; 0x171ea1ac
	.long	2521400838                      ; 0x96498606
	.long	2359639886                      ; 0x8ca53f4e
	;; [unrolled: 3-line block ×3, first 2 shown]
	.long	2387198764                      ; 0x8e49c32c
	.long	3619233779                      ; 0xd7b91ff3
	;; [unrolled: 1-line block ×8, first 2 shown]
	.long	386502519                       ; 0x17098f77
	.long	2557524017                      ; 0x9870b831
	.long	1857180133                      ; 0x6eb251e5
	.long	618903690                       ; 0x24e3b88a
	.long	113530176                       ; 0x6c45540
	.long	30080431                        ; 0x1cafdaf
	.long	2084292404                      ; 0x7c3bc734
	.long	1698607774                      ; 0x653eb29e
	;; [unrolled: 1-line block ×7, first 2 shown]
	.long	588281768                       ; 0x231077a8
	.long	145530757                       ; 0x8ac9f85
	.long	238328161                       ; 0xe349961
	.long	1307962320                      ; 0x4df5ebd0
	.long	2562217840                      ; 0x98b85770
	;; [unrolled: 1-line block ×12, first 2 shown]
	.long	534637095                       ; 0x1fddea27
	.long	1759744354                      ; 0x68e39162
	.long	652336168                       ; 0x26e1dc28
	.long	802354899                       ; 0x2fd2f6d3
	.long	3998709605                      ; 0xee577765
	.long	3944315555                      ; 0xeb197aa3
	;; [unrolled: 1-line block ×4, first 2 shown]
	.long	488532673                       ; 0x1d1e6ac1
	.long	3063734121                      ; 0xb69cdf69
	.long	1318974867                      ; 0x4e9df593
	.long	728549366                       ; 0x2b6cc7f6
	.long	1106075322                      ; 0x41ed5eba
	.long	4170479404                      ; 0xf894772c
	;; [unrolled: 3-line block ×3, first 2 shown]
	.long	2404132022                      ; 0x8f4c24b6
	.long	2085263921                      ; 0x7c4a9a31
	;; [unrolled: 1-line block ×3, first 2 shown]
	.long	230704223                       ; 0xdc0445f
	.long	3329510499                      ; 0xc6744c63
	.long	918664020                       ; 0x36c1b354
	.long	683877298                       ; 0x28c323b2
	.long	3635026316                      ; 0xd8aa198c
	.long	3839461209                      ; 0xe4d98759
	.long	79335966                        ; 0x4ba921e
	.long	1943458501                      ; 0x73d6d2c5
	.long	3767172681                      ; 0xe08a7e49
	;; [unrolled: 1-line block ×4, first 2 shown]
	.long	925084463                       ; 0x3723ab2f
	.long	276593262                       ; 0x107c7a6e
	.long	3287828387                      ; 0xc3f847a3
	.long	1565768431                      ; 0x5d53baef
	;; [unrolled: 1-line block ×5, first 2 shown]
	.long	112739894                       ; 0x6b84636
	.long	4052025045                      ; 0xf184fed5
	.long	1396839113                      ; 0x534212c9
	.long	865124022                       ; 0x3390beb6
	.long	4056830215                      ; 0xf1ce5107
	.long	2185320852                      ; 0x82415994
	;; [unrolled: 1-line block ×4, first 2 shown]
	.long	408329043                       ; 0x18569b53
	.long	1542171596                      ; 0x5bebabcc
	.long	1243549180                      ; 0x4a1f0dfc
	;; [unrolled: 1-line block ×3, first 2 shown]
	.long	149304348                       ; 0x8e6341c
	.long	3549625626                      ; 0xd392fd1a
	.long	3578672658                      ; 0xd54e3612
	.long	350687475                       ; 0x14e710f3
	.long	1512442864                      ; 0x5a260bf0
	.long	3764389325                      ; 0xe06005cd
	;; [unrolled: 1-line block ×5, first 2 shown]
	.long	30674096                        ; 0x1d40cb0
	.long	3202650841                      ; 0xbee492d9
	.long	1591955495                      ; 0x5ee35027
	;; [unrolled: 1-line block ×4, first 2 shown]
	.long	674361204                       ; 0x2831ef74
	.long	1384681012                      ; 0x52888e34
	.long	4064148122                      ; 0xf23dfa9a
	;; [unrolled: 1-line block ×3, first 2 shown]
	.long	289282175                       ; 0x113e187f
	.long	966029495                       ; 0x399470b7
	.long	3052791893                      ; 0xb5f5e855
	.long	1370867977                      ; 0x51b5c909
	;; [unrolled: 1-line block ×7, first 2 shown]
	.long	558548232                       ; 0x214ac508
	.long	3337397349                      ; 0xc6eca465
	.long	2392730459                      ; 0x8e9e2b5b
	;; [unrolled: 1-line block ×7, first 2 shown]
	.long	797579212                       ; 0x2f8a17cc
	.long	3928348491                      ; 0xea25d74b
	.long	1754284241                      ; 0x689040d1
	.long	797556690                       ; 0x2f89bfd2
	.long	4106236617                      ; 0xf4c032c9
	.long	1379943929                      ; 0x524045f9
	.long	535801204                       ; 0x1fefad74
	.long	1072954804                      ; 0x3ff3fdb4
	.long	723231430                       ; 0x2b1ba2c6
	.long	88997404                        ; 0x54dfe1c
	.long	2591283275                      ; 0x9a73d84b
	.long	3834650337                      ; 0xe4901ee1
	;; [unrolled: 1-line block ×7, first 2 shown]
	.long	529478744                       ; 0x1f8f3458
	.long	3586751806                      ; 0xd5c97d3e
	.long	2045807380                      ; 0x79f08b14
	;; [unrolled: 1-line block ×8, first 2 shown]
	.long	234512721                       ; 0xdfa6151
	.long	2510614710                      ; 0x95a4f0b6
	.long	1536493323                      ; 0x5b95070b
	;; [unrolled: 1-line block ×3, first 2 shown]
	.long	575328723                       ; 0x224ad1d3
	.long	3997395999                      ; 0xee436c1f
	.long	4185709932                      ; 0xf97cdd6c
	;; [unrolled: 1-line block ×3, first 2 shown]
	.long	387883436                       ; 0x171ea1ac
	.long	2521400838                      ; 0x96498606
	.long	3125399953                      ; 0xba49d191
	.long	143795416                       ; 0x89224d8
	.long	2094643916                      ; 0x7cd9bacc
	.long	2269112547                      ; 0x873fe8e3
	;; [unrolled: 1-line block ×3, first 2 shown]
	.long	652167990                       ; 0x26df4b36
	.long	2856133500                      ; 0xaa3d237c
	.long	2910774311                      ; 0xad7ee427
	;; [unrolled: 1-line block ×6, first 2 shown]
	.long	386502519                       ; 0x17098f77
	.long	2557524017                      ; 0x9870b831
	.long	1857180133                      ; 0x6eb251e5
	;; [unrolled: 1-line block ×3, first 2 shown]
	.long	113530176                       ; 0x6c45540
	.long	30080431                        ; 0x1cafdaf
	.long	2084292404                      ; 0x7c3bc734
	.long	1698607774                      ; 0x653eb29e
	.long	391246724                       ; 0x1751f384
	.long	1446640841                      ; 0x5639fcc9
	.long	1158684464                      ; 0x45101f30
	;; [unrolled: 1-line block ×5, first 2 shown]
	.long	145530757                       ; 0x8ac9f85
	.long	238328161                       ; 0xe349961
	.long	1307962320                      ; 0x4df5ebd0
	.long	2562217840                      ; 0x98b85770
	;; [unrolled: 1-line block ×14, first 2 shown]
	.long	652336168                       ; 0x26e1dc28
	.long	802354899                       ; 0x2fd2f6d3
	.long	3998709605                      ; 0xee577765
	.long	1781938823                      ; 0x6a363a87
	;; [unrolled: 1-line block ×4, first 2 shown]
	.long	488532673                       ; 0x1d1e6ac1
	.long	3063734121                      ; 0xb69cdf69
	.long	3539633540                      ; 0xd2fa8584
	.long	728549366                       ; 0x2b6cc7f6
	.long	1106075322                      ; 0x41ed5eba
	.long	4170479404                      ; 0xf894772c
	;; [unrolled: 3-line block ×3, first 2 shown]
	.long	2404132022                      ; 0x8f4c24b6
	.long	2085263921                      ; 0x7c4a9a31
	;; [unrolled: 1-line block ×5, first 2 shown]
	.long	918664020                       ; 0x36c1b354
	.long	683877298                       ; 0x28c323b2
	.long	3635026316                      ; 0xd8aa198c
	.long	2918953355                      ; 0xadfbb18b
	.long	79335966                        ; 0x4ba921e
	.long	1943458501                      ; 0x73d6d2c5
	.long	3767172681                      ; 0xe08a7e49
	;; [unrolled: 1-line block ×3, first 2 shown]
	.long	341369607                       ; 0x1458e307
	.long	925084463                       ; 0x3723ab2f
	;; [unrolled: 1-line block ×3, first 2 shown]
	.long	3287828387                      ; 0xc3f847a3
	.long	1565768431                      ; 0x5d53baef
	;; [unrolled: 1-line block ×5, first 2 shown]
	.long	112739894                       ; 0x6b84636
	.long	4052025045                      ; 0xf184fed5
	.long	1847440090                      ; 0x6e1db2da
	.long	865124022                       ; 0x3390beb6
	.long	4056830215                      ; 0xf1ce5107
	.long	2185320852                      ; 0x82415994
	;; [unrolled: 1-line block ×4, first 2 shown]
	.long	408329043                       ; 0x18569b53
	.long	1542171596                      ; 0x5bebabcc
	.long	1243549180                      ; 0x4a1f0dfc
	;; [unrolled: 1-line block ×3, first 2 shown]
	.long	179432054                       ; 0xab1ea76
	.long	3549625626                      ; 0xd392fd1a
	.long	3578672658                      ; 0xd54e3612
	.long	350687475                       ; 0x14e710f3
	.long	1512442864                      ; 0x5a260bf0
	.long	2118138924                      ; 0x7e403c2c
	;; [unrolled: 1-line block ×5, first 2 shown]
	.long	30674096                        ; 0x1d40cb0
	.long	2317064191                      ; 0x8a1b97ff
	.long	1591955495                      ; 0x5ee35027
	;; [unrolled: 1-line block ×4, first 2 shown]
	.long	674361204                       ; 0x2831ef74
	.long	3286542168                      ; 0xc3e4a758
	.long	4064148122                      ; 0xf23dfa9a
	;; [unrolled: 1-line block ×3, first 2 shown]
	.long	289282175                       ; 0x113e187f
	.long	966029495                       ; 0x399470b7
	.long	1327408800                      ; 0x4f1ea6a0
	.long	1370867977                      ; 0x51b5c909
	;; [unrolled: 1-line block ×5, first 2 shown]
	.long	405707683                       ; 0x182e9ba3
	.long	4021792514                      ; 0xefb7af02
	.long	558548232                       ; 0x214ac508
	.long	3337397349                      ; 0xc6eca465
	.long	2392730459                      ; 0x8e9e2b5b
	;; [unrolled: 1-line block ×10, first 2 shown]
	.long	797556690                       ; 0x2f89bfd2
	.long	4106236617                      ; 0xf4c032c9
	.long	2665938417                      ; 0x9ee6fdf1
	.long	535801204                       ; 0x1fefad74
	.long	1072954804                      ; 0x3ff3fdb4
	.long	723231430                       ; 0x2b1ba2c6
	.long	88997404                        ; 0x54dfe1c
	.long	3006584290                      ; 0xb334d5e2
	.long	3834650337                      ; 0xe4901ee1
	;; [unrolled: 1-line block ×7, first 2 shown]
	.long	529478744                       ; 0x1f8f3458
	.long	3586751806                      ; 0xd5c97d3e
	.long	2045807380                      ; 0x79f08b14
	;; [unrolled: 1-line block ×8, first 2 shown]
	.long	234512721                       ; 0xdfa6151
	.long	2510614710                      ; 0x95a4f0b6
	.long	1536493323                      ; 0x5b95070b
	;; [unrolled: 1-line block ×7, first 2 shown]
	.long	387883436                       ; 0x171ea1ac
	.long	3979684113                      ; 0xed352911
	.long	3125399953                      ; 0xba49d191
	.long	143795416                       ; 0x89224d8
	.long	2094643916                      ; 0x7cd9bacc
	.long	2269112547                      ; 0x873fe8e3
	.long	1499026790                      ; 0x59595566
	.long	2673871071                      ; 0x9f6008df
	.long	3817604600                      ; 0xe38c05f8
	.long	2996498142                      ; 0xb29aeede
	.long	1211396713                      ; 0x48347269
	.long	4016438754                      ; 0xef65fde2
	.long	992969238                       ; 0x3b2f8216
	.long	2196610884                      ; 0x82ed9f44
	.long	1333868752                      ; 0x4f8138d0
	;; [unrolled: 1-line block ×4, first 2 shown]
	.long	533478044                       ; 0x1fcc3a9c
	.long	291720336                       ; 0x11634c90
	.long	3552502714                      ; 0xd3bee3ba
	.long	1060260388                      ; 0x3f324a24
	;; [unrolled: 1-line block ×16, first 2 shown]
	.long	925764827                       ; 0x372e0cdb
	.long	1750660924                      ; 0x6858f73c
	.long	141239116                       ; 0x86b234c
	.long	3273085573                      ; 0xc3175285
	.long	2427940522                      ; 0x90b76eaa
	;; [unrolled: 1-line block ×9, first 2 shown]
	.long	571850463                       ; 0x2215bedf
	.long	1599484831                      ; 0x5f56339f
	.long	76923002                        ; 0x495c07a
	.long	3077572436                      ; 0xb7700754
	.long	4086821865                      ; 0xf397f3e9
	.long	1523654720                      ; 0x5ad12040
	.long	480304732                       ; 0x1ca0de5c
	.long	476538774                       ; 0x1c676796
	.long	2169116383                      ; 0x814a16df
	.long	4033618691                      ; 0xf06c2303
	;; [unrolled: 1-line block ×4, first 2 shown]
	.long	747450871                       ; 0x2c8d31f7
	.long	1851448547                      ; 0x6e5adce3
	.long	713503330                       ; 0x2a873262
	.long	3709263622                      ; 0xdd16df06
	;; [unrolled: 2-line block ×3, first 2 shown]
	.long	2933719965                      ; 0xaedd039d
	.long	4057398020                      ; 0xf1d6fb04
	;; [unrolled: 1-line block ×3, first 2 shown]
	.long	689436820                       ; 0x2917f894
	.long	2935729647                      ; 0xaefbadef
	.long	2030357428                      ; 0x7904cbb4
	;; [unrolled: 1-line block ×9, first 2 shown]
	.long	159450674                       ; 0x9810632
	.long	1050507045                      ; 0x3e9d7725
	.long	566046625                       ; 0x21bd2fa1
	.long	2253420120                      ; 0x86507658
	;; [unrolled: 2-line block ×3, first 2 shown]
	.long	4081490982                      ; 0xf3469c26
	.long	1427186514                      ; 0x55112352
	;; [unrolled: 1-line block ×5, first 2 shown]
	.long	930420754                       ; 0x37751812
	.long	2519255367                      ; 0x9628c947
	.long	49908928                        ; 0x2f98cc0
	.long	454325685                       ; 0x1b1475b5
	.long	888118139                       ; 0x34ef9b7b
	.long	3453892181                      ; 0xcdde3655
	.long	1263601461                      ; 0x4b510735
	.long	1236190782                      ; 0x49aec63e
	.long	674943665                       ; 0x283ad2b1
	.long	1648077470                      ; 0x623baa9e
	.long	429399730                       ; 0x19981eb2
	.long	2904879506                      ; 0xad24f192
	.long	3718410520                      ; 0xdda27118
	;; [unrolled: 1-line block ×4, first 2 shown]
	.long	605480672                       ; 0x2416e6e0
	.long	774749173                       ; 0x2e2dbbf5
	.long	3200570514                      ; 0xbec4d492
	.long	181210046                       ; 0xacd0bbe
	.long	2560898144                      ; 0x98a43460
	.long	3947027625                      ; 0xeb42dca9
	;; [unrolled: 1-line block ×3, first 2 shown]
	.long	324801283                       ; 0x135c1303
	.long	4234744788                      ; 0xfc6913d4
	.long	746560316                       ; 0x2c7f9b3c
	.long	2456297875                      ; 0x92682193
	.long	3925756080                      ; 0xe9fe48b0
	.long	533997731                       ; 0x1fd428a3
	.long	3919796086                      ; 0xe9a35776
	.long	662975152                       ; 0x278432b0
	.long	864661066                       ; 0x3389ae4a
	.long	1070894403                      ; 0x3fd48d43
	.long	1020445801                      ; 0x3cd2c469
	.long	1511298602                      ; 0x5a14962a
	.long	4221508348                      ; 0xfb9f1afc
	.long	3577952702                      ; 0xd54339be
	.long	4122306502                      ; 0xf5b567c6
	.long	2012051572                      ; 0x77ed7874
	.long	1616168260                      ; 0x6054c544
	.long	2456901413                      ; 0x92715725
	.long	2717726537                      ; 0xa1fd3749
	.long	840264605                       ; 0x32156b9d
	.long	2687215223                      ; 0xa02ba677
	.long	2174960097                      ; 0x81a341e1
	;; [unrolled: 1-line block ×6, first 2 shown]
	.long	563137220                       ; 0x2190cac4
	.long	893868530                       ; 0x354759f2
	.long	3400632172                      ; 0xcab1876c
	.long	1538627830                      ; 0x5bb598f6
	;; [unrolled: 1-line block ×3, first 2 shown]
	.long	496662288                       ; 0x1d9a7710
	.long	2317289974                      ; 0x8a1f09f6
	.long	2252393722                      ; 0x8640ccfa
	;; [unrolled: 1-line block ×4, first 2 shown]
	.long	402670890                       ; 0x1800452a
	.long	1528570045                      ; 0x5b1c20bd
	.long	3160531718                      ; 0xbc61e306
	;; [unrolled: 1-line block ×7, first 2 shown]
	.long	341637330                       ; 0x145cf8d2
	.long	2097019728                      ; 0x7cfdfb50
	.long	4031221207                      ; 0xf0478dd7
	.long	503636424                       ; 0x1e04e1c8
	.long	3883416740                      ; 0xe7783ca4
	.long	1530237682                      ; 0x5b3592f2
	;; [unrolled: 1-line block ×4, first 2 shown]
	.long	332460372                       ; 0x13d0f154
	.long	457364876                       ; 0x1b42d58c
	.long	1738239808                      ; 0x679b6f40
	.long	1118787884                      ; 0x42af592c
	;; [unrolled: 1-line block ×8, first 2 shown]
	.long	163554565                       ; 0x9bfa505
	.long	3928803020                      ; 0xea2cc6cc
	.long	2632714628                      ; 0x9cec0984
	;; [unrolled: 1-line block ×12, first 2 shown]
	.long	255485979                       ; 0xf3a681b
	.long	3657534664                      ; 0xda018cc8
	.long	1317185871                      ; 0x4e82a94f
	;; [unrolled: 1-line block ×4, first 2 shown]
	.long	907575923                       ; 0x36188273
	.long	4132859581                      ; 0xf6566ebd
	.long	416269582                       ; 0x18cfc50e
	.long	877554291                       ; 0x344e6a73
	.long	633895348                       ; 0x25c879b4
	.long	2236014545                      ; 0x8546dfd1
	.long	992386759                       ; 0x3b269ec7
	.long	3971362318                      ; 0xecb62e0e
	.long	2173597771                      ; 0x818e784b
	.long	1673339632                      ; 0x63bd22f0
	.long	1371742490                      ; 0x51c3211a
	.long	2033574313                      ; 0x7935e1a9
	.long	3809530180                      ; 0xe310d144
	.long	319182848                       ; 0x13065800
	.long	1562235776                      ; 0x5d1dd380
	.long	463522324                       ; 0x1ba0ca14
	.long	1482338913                      ; 0x585ab261
	.long	1816432405                      ; 0x6c448f15
	;; [unrolled: 1-line block ×4, first 2 shown]
	.long	171265751                       ; 0xa354ed7
	.long	2249118654                      ; 0x860ed3be
	.long	1153849045                      ; 0x44c656d5
	;; [unrolled: 1-line block ×6, first 2 shown]
	.long	623675874                       ; 0x252c89e2
	.long	3608469129                      ; 0xd714de89
	.long	978093004                       ; 0x3a4c83cc
	.long	1283228910                      ; 0x4c7c84ee
	.long	1810859539                      ; 0x6bef8613
	;; [unrolled: 1-line block ×6, first 2 shown]
	.long	376788629                       ; 0x16755695
	.long	314507445                       ; 0x12bf00b5
	;; [unrolled: 1-line block ×4, first 2 shown]
	.long	2994990779                      ; 0xb283eebb
	.long	1035692306                      ; 0x3dbb6912
	;; [unrolled: 1-line block ×6, first 2 shown]
	.long	939691799                       ; 0x38028f17
	.long	3080056566                      ; 0xb795eef6
	.long	3741305118                      ; 0xdeffc91e
	;; [unrolled: 1-line block ×3, first 2 shown]
	.long	65327713                        ; 0x3e4d261
	.long	3884301346                      ; 0xe785bc22
	.long	2536445014                      ; 0x972f1456
	;; [unrolled: 1-line block ×9, first 2 shown]
	.long	480342712                       ; 0x1ca172b8
	.long	451634742                       ; 0x1aeb6636
	.long	3562778450                      ; 0xd45baf52
	.long	1943708078                      ; 0x73daa1ae
	.long	660077747                       ; 0x2757fcb3
	.long	434714388                       ; 0x19e93714
	.long	2369278293                      ; 0x8d385155
	.long	2894425895                      ; 0xac856f27
	;; [unrolled: 1-line block ×4, first 2 shown]
	.long	551196237                       ; 0x20da964d
	.long	4193980239                      ; 0xf9fb0f4f
	.long	2952382875                      ; 0xaff9c99b
	;; [unrolled: 1-line block ×20, first 2 shown]
	.long	422675402                       ; 0x193183ca
	.long	477894725                       ; 0x1c7c1845
	.long	3398641827                      ; 0xca9328a3
	.long	1366451030                      ; 0x51726356
	;; [unrolled: 1-line block ×4, first 2 shown]
	.long	35700837                        ; 0x220c065
	.long	2937170986                      ; 0xaf11ac2a
	.long	1336296570                      ; 0x4fa6447a
	;; [unrolled: 1-line block ×3, first 2 shown]
	.long	587724229                       ; 0x2307f5c5
	.long	2051237478                      ; 0x7a436666
	.long	3539754304                      ; 0xd2fc5d40
	;; [unrolled: 1-line block ×4, first 2 shown]
	.long	144772179                       ; 0x8a10c53
	.long	353408424                       ; 0x151095a8
	.long	3493806256                      ; 0xd03f40b0
	.long	3782958493                      ; 0xe17b5d9d
	;; [unrolled: 1-line block ×3, first 2 shown]
	.long	228084488                       ; 0xd984b08
	.long	192277278                       ; 0xb75eb1e
	.long	3612092522                      ; 0xd74c286a
	.long	2235069734                      ; 0x85387526
	.long	467407503                       ; 0x1bdc128f
	.long	3391861572                      ; 0xca2bb344
	.long	847810786                       ; 0x328890e2
	.long	1838763654                      ; 0x6d994e86
	.long	2272109211                      ; 0x876da29b
	;; [unrolled: 1-line block ×9, first 2 shown]
	.long	714311566                       ; 0x2a93878e
	.long	1346246305                      ; 0x503e16a1
	.long	2865157059                      ; 0xaac6d3c3
	.long	2989587005                      ; 0xb2317a3d
	.long	3946819548                      ; 0xeb3fafdc
	.long	3109244860                      ; 0xb9534fbc
	.long	3885124598                      ; 0xe7924bf6
	.long	3314346978                      ; 0xc58cebe2
	.long	952826829                       ; 0x38cafbcd
	.long	1118787884                      ; 0x42af592c
	.long	1884590246                      ; 0x705490a6
	.long	1007052798                      ; 0x3c0667fe
	.long	3717680750                      ; 0xdd974e6e
	.long	1521451317                      ; 0x5aaf8135
	.long	2486654530                      ; 0x94375642
	.long	2761168910                      ; 0xa494180e
	;; [unrolled: 8-line block ×3, first 2 shown]
	.long	4197635108                      ; 0xfa32d424
	.long	1030118238                      ; 0x3d665b5e
	;; [unrolled: 1-line block ×5, first 2 shown]
	.long	255485979                       ; 0xf3a681b
	.long	3657534664                      ; 0xda018cc8
	.long	1317185871                      ; 0x4e82a94f
	;; [unrolled: 1-line block ×4, first 2 shown]
	.long	907575923                       ; 0x36188273
	.long	4132859581                      ; 0xf6566ebd
	.long	416269582                       ; 0x18cfc50e
	.long	877554291                       ; 0x344e6a73
	.long	2338964683                      ; 0x8b69c4cb
	.long	2236014545                      ; 0x8546dfd1
	.long	992386759                       ; 0x3b269ec7
	.long	3971362318                      ; 0xecb62e0e
	.long	2173597771                      ; 0x818e784b
	;; [unrolled: 3-line block ×3, first 2 shown]
	.long	3809530180                      ; 0xe310d144
	.long	319182848                       ; 0x13065800
	.long	3090313228                      ; 0xb832700c
	.long	463522324                       ; 0x1ba0ca14
	.long	1482338913                      ; 0x585ab261
	.long	1816432405                      ; 0x6c448f15
	;; [unrolled: 1-line block ×4, first 2 shown]
	.long	171265751                       ; 0xa354ed7
	.long	2249118654                      ; 0x860ed3be
	.long	1153849045                      ; 0x44c656d5
	;; [unrolled: 1-line block ×6, first 2 shown]
	.long	623675874                       ; 0x252c89e2
	.long	3608469129                      ; 0xd714de89
	.long	3096087202                      ; 0xb88a8aa2
	;; [unrolled: 1-line block ×8, first 2 shown]
	.long	376788629                       ; 0x16755695
	.long	314507445                       ; 0x12bf00b5
	;; [unrolled: 1-line block ×3, first 2 shown]
	.long	1174181426                      ; 0x45fc9632
	.long	2994990779                      ; 0xb283eebb
	;; [unrolled: 1-line block ×5, first 2 shown]
	.long	752017703                       ; 0x2cd2e127
	.long	1815095408                      ; 0x6c302870
	.long	939691799                       ; 0x38028f17
	.long	3080056566                      ; 0xb795eef6
	.long	3741305118                      ; 0xdeffc91e
	.long	126135654                       ; 0x784ad66
	.long	65327713                        ; 0x3e4d261
	.long	3884301346                      ; 0xe785bc22
	.long	2536445014                      ; 0x972f1456
	;; [unrolled: 1-line block ×3, first 2 shown]
	.long	955981361                       ; 0x38fb1e31
	.long	3678532805                      ; 0xdb41f4c5
	.long	2616964783                      ; 0x9bfbb6af
	.long	3168581019                      ; 0xbcdcb59b
	.long	3553322118                      ; 0xd3cb6486
	.long	3772187171                      ; 0xe0d70223
	.long	480342712                       ; 0x1ca172b8
	.long	451634742                       ; 0x1aeb6636
	.long	3562778450                      ; 0xd45baf52
	.long	1943708078                      ; 0x73daa1ae
	;; [unrolled: 1-line block ×3, first 2 shown]
	.long	434714388                       ; 0x19e93714
	.long	2369278293                      ; 0x8d385155
	.long	2894425895                      ; 0xac856f27
	;; [unrolled: 1-line block ×3, first 2 shown]
	.long	317862862                       ; 0x12f233ce
	.long	551196237                       ; 0x20da964d
	.long	4193980239                      ; 0xf9fb0f4f
	.long	2952382875                      ; 0xaff9c99b
	;; [unrolled: 1-line block ×3, first 2 shown]
	.long	12728591                        ; 0xc2390f
	.long	2845888917                      ; 0xa9a0d195
	.long	1669184098                      ; 0x637dba62
	.long	3928626091                      ; 0xea2a13ab
	.long	2491577076                      ; 0x948272f4
	.long	2742989641                      ; 0xa37eb349
	.long	2151963814                      ; 0x80445ca6
	.long	3474431449                      ; 0xcf179dd9
	.long	3971510537                      ; 0xecb87109
	.long	3695841119                      ; 0xdc4a0f5f
	.long	1005662613                      ; 0x3bf13195
	.long	3668152847                      ; 0xdaa3920f
	.long	1974578319                      ; 0x75b1ac8f
	.long	2328185090                      ; 0x8ac54902
	.long	2096356935                      ; 0x7cf3de47
	.long	3629684995                      ; 0xd8589903
	.long	3954842437                      ; 0xebba1b45
	.long	422675402                       ; 0x193183ca
	.long	477894725                       ; 0x1c7c1845
	.long	3398641827                      ; 0xca9328a3
	.long	209352768                       ; 0xc7a7840
	.long	1354642198                      ; 0x50be3316
	.long	3029840461                      ; 0xb497b24d
	.long	35700837                        ; 0x220c065
	.long	2937170986                      ; 0xaf11ac2a
	.long	1660777984                      ; 0x62fd7600
	.long	3508313874                      ; 0xd11c9f12
	.long	587724229                       ; 0x2307f5c5
	.long	2051237478                      ; 0x7a436666
	.long	3539754304                      ; 0xd2fc5d40
	;; [unrolled: 1-line block ×4, first 2 shown]
	.long	144772179                       ; 0x8a10c53
	.long	353408424                       ; 0x151095a8
	.long	3493806256                      ; 0xd03f40b0
	.long	3616422021                      ; 0xd78e3885
	;; [unrolled: 1-line block ×3, first 2 shown]
	.long	228084488                       ; 0xd984b08
	.long	192277278                       ; 0xb75eb1e
	.long	3612092522                      ; 0xd74c286a
	.long	3638977910                      ; 0xd8e66576
	.long	467407503                       ; 0x1bdc128f
	.long	3391861572                      ; 0xca2bb344
	.long	847810786                       ; 0x328890e2
	.long	1838763654                      ; 0x6d994e86
	.long	2427237699                      ; 0x90acb543
	;; [unrolled: 1-line block ×9, first 2 shown]
	.long	714311566                       ; 0x2a93878e
	.long	1346246305                      ; 0x503e16a1
	.long	954101391                       ; 0x38de6e8f
	.long	2989587005                      ; 0xb2317a3d
	.long	3946819548                      ; 0xeb3fafdc
	;; [unrolled: 1-line block ×4, first 2 shown]
	.long	420941376                       ; 0x19170e40
	.long	952826829                       ; 0x38cafbcd
	.long	1118787884                      ; 0x42af592c
	.long	1884590246                      ; 0x705490a6
	.long	1007052798                      ; 0x3c0667fe
	.long	539759724                       ; 0x202c146c
	.long	1521451317                      ; 0x5aaf8135
	.long	2486654530                      ; 0x94375642
	.long	2761168910                      ; 0xa494180e
	;; [unrolled: 4-line block ×3, first 2 shown]
	.long	2621928183                      ; 0x9c4772f7
	.long	2855206157                      ; 0xaa2efd0d
	;; [unrolled: 1-line block ×9, first 2 shown]
	.long	255485979                       ; 0xf3a681b
	.long	3657534664                      ; 0xda018cc8
	.long	1317185871                      ; 0x4e82a94f
	;; [unrolled: 1-line block ×4, first 2 shown]
	.long	907575923                       ; 0x36188273
	.long	4132859581                      ; 0xf6566ebd
	.long	416269582                       ; 0x18cfc50e
	.long	2980178044                      ; 0xb1a1e87c
	.long	2338964683                      ; 0x8b69c4cb
	;; [unrolled: 1-line block ×3, first 2 shown]
	.long	992386759                       ; 0x3b269ec7
	.long	3971362318                      ; 0xecb62e0e
	.long	2573125018                      ; 0x995ec59a
	.long	579340117                       ; 0x22880755
	.long	1371742490                      ; 0x51c3211a
	.long	2033574313                      ; 0x7935e1a9
	;; [unrolled: 1-line block ×3, first 2 shown]
	.long	766585731                       ; 0x2db12b83
	.long	3090313228                      ; 0xb832700c
	.long	463522324                       ; 0x1ba0ca14
	.long	1482338913                      ; 0x585ab261
	.long	1816432405                      ; 0x6c448f15
	;; [unrolled: 1-line block ×4, first 2 shown]
	.long	171265751                       ; 0xa354ed7
	.long	2249118654                      ; 0x860ed3be
	.long	1153849045                      ; 0x44c656d5
	;; [unrolled: 1-line block ×6, first 2 shown]
	.long	623675874                       ; 0x252c89e2
	.long	2944231951                      ; 0xaf7d6a0f
	.long	3096087202                      ; 0xb88a8aa2
	;; [unrolled: 1-line block ×5, first 2 shown]
	.long	374714364                       ; 0x1655affc
	.long	2601862091                      ; 0x9b1543cb
	.long	1168357273                      ; 0x45a3b799
	.long	376788629                       ; 0x16755695
	.long	314507445                       ; 0x12bf00b5
	.long	1710922505                      ; 0x65fa9b09
	.long	1174181426                      ; 0x45fc9632
	;; [unrolled: 1-line block ×6, first 2 shown]
	.long	752017703                       ; 0x2cd2e127
	.long	1815095408                      ; 0x6c302870
	.long	939691799                       ; 0x38028f17
	.long	3080056566                      ; 0xb795eef6
	.long	1985366287                      ; 0x7656490f
	.long	126135654                       ; 0x784ad66
	.long	65327713                        ; 0x3e4d261
	.long	3884301346                      ; 0xe785bc22
	.long	2536445014                      ; 0x972f1456
	;; [unrolled: 1-line block ×3, first 2 shown]
	.long	955981361                       ; 0x38fb1e31
	.long	3678532805                      ; 0xdb41f4c5
	.long	2616964783                      ; 0x9bfbb6af
	;; [unrolled: 1-line block ×5, first 2 shown]
	.long	480342712                       ; 0x1ca172b8
	.long	451634742                       ; 0x1aeb6636
	.long	3562778450                      ; 0xd45baf52
	.long	236095606                       ; 0xe128876
	.long	1466950454                      ; 0x576fe336
	;; [unrolled: 2-line block ×3, first 2 shown]
	.long	2894425895                      ; 0xac856f27
	.long	1766257461                      ; 0x6946f335
	.long	317862862                       ; 0x12f233ce
	.long	551196237                       ; 0x20da964d
	.long	4193980239                      ; 0xf9fb0f4f
	.long	2952382875                      ; 0xaff9c99b
	;; [unrolled: 1-line block ×3, first 2 shown]
	.long	12728591                        ; 0xc2390f
	.long	2845888917                      ; 0xa9a0d195
	.long	1669184098                      ; 0x637dba62
	;; [unrolled: 1-line block ×8, first 2 shown]
	.long	942354812                       ; 0x382b317c
	.long	1005662613                      ; 0x3bf13195
	.long	3668152847                      ; 0xdaa3920f
	.long	1974578319                      ; 0x75b1ac8f
	.long	2328185090                      ; 0x8ac54902
	.long	3234982376                      ; 0xc0d1e9e8
	.long	3629684995                      ; 0xd8589903
	.long	3954842437                      ; 0xebba1b45
	.long	422675402                       ; 0x193183ca
	.long	477894725                       ; 0x1c7c1845
	.long	2931444539                      ; 0xaeba4b3b
	.long	209352768                       ; 0xc7a7840
	.long	1354642198                      ; 0x50be3316
	.long	3029840461                      ; 0xb497b24d
	.long	35700837                        ; 0x220c065
	.long	3388567298                      ; 0xc9f96f02
	.long	1660777984                      ; 0x62fd7600
	;; [unrolled: 1-line block ×3, first 2 shown]
	.long	587724229                       ; 0x2307f5c5
	.long	2051237478                      ; 0x7a436666
	.long	1770178720                      ; 0x6982c8a0
	;; [unrolled: 1-line block ×4, first 2 shown]
	.long	144772179                       ; 0x8a10c53
	.long	353408424                       ; 0x151095a8
	.long	3783114255                      ; 0xe17dbe0f
	.long	3616422021                      ; 0xd78e3885
	;; [unrolled: 1-line block ×3, first 2 shown]
	.long	228084488                       ; 0xd984b08
	.long	192277278                       ; 0xb75eb1e
	;; [unrolled: 1-line block ×3, first 2 shown]
	.long	3638977910                      ; 0xd8e66576
	.long	467407503                       ; 0x1bdc128f
	.long	3391861572                      ; 0xca2bb344
	.long	847810786                       ; 0x328890e2
	.long	1413548572                      ; 0x54410a1c
	.long	2427237699                      ; 0x90acb543
	;; [unrolled: 1-line block ×9, first 2 shown]
	.long	714311566                       ; 0x2a93878e
	.long	1378213368                      ; 0x5225ddf8
	.long	954101391                       ; 0x38de6e8f
	.long	2989587005                      ; 0xb2317a3d
	.long	3946819548                      ; 0xeb3fafdc
	;; [unrolled: 1-line block ×4, first 2 shown]
	.long	420941376                       ; 0x19170e40
	.long	952826829                       ; 0x38cafbcd
	.long	1118787884                      ; 0x42af592c
	.long	1884590246                      ; 0x705490a6
	;; [unrolled: 1-line block ×3, first 2 shown]
	.long	539759724                       ; 0x202c146c
	.long	1521451317                      ; 0x5aaf8135
	.long	2486654530                      ; 0x94375642
	.long	2761168910                      ; 0xa494180e
	.long	1100080647                      ; 0x4191e607
	.long	1954997983                      ; 0x7486e6df
	.long	2299046195                      ; 0x8908a933
	.long	1386788970                      ; 0x52a8b86a
	.long	2621928183                      ; 0x9c4772f7
	.long	916352763                       ; 0x369e6efb
	.long	3104695189                      ; 0xb90de395
	.long	3048269905                      ; 0xb5b0e851
	;; [unrolled: 1-line block ×4, first 2 shown]
	.long	369866139                       ; 0x160bb59b
	.long	3556473570                      ; 0xd3fb7ae2
	.long	1814057352                      ; 0x6c205188
	.long	255485979                       ; 0xf3a681b
	.long	3657534664                      ; 0xda018cc8
	.long	2916985473                      ; 0xadddaa81
	;; [unrolled: 1-line block ×4, first 2 shown]
	.long	907575923                       ; 0x36188273
	.long	4132859581                      ; 0xf6566ebd
	.long	3856599532                      ; 0xe5df09ec
	;; [unrolled: 1-line block ×5, first 2 shown]
	.long	992386759                       ; 0x3b269ec7
	.long	3393662326                      ; 0xca472d76
	.long	2573125018                      ; 0x995ec59a
	.long	579340117                       ; 0x22880755
	.long	1371742490                      ; 0x51c3211a
	.long	2033574313                      ; 0x7935e1a9
	;; [unrolled: 1-line block ×3, first 2 shown]
	.long	766585731                       ; 0x2db12b83
	.long	3090313228                      ; 0xb832700c
	.long	463522324                       ; 0x1ba0ca14
	.long	1482338913                      ; 0x585ab261
	.long	2122086302                      ; 0x7e7c779e
	;; [unrolled: 1-line block ×4, first 2 shown]
	.long	171265751                       ; 0xa354ed7
	.long	2249118654                      ; 0x860ed3be
	.long	952602228                       ; 0x38c78e74
	.long	2143267892                      ; 0x7fbfac34
	.long	2738647190                      ; 0xa33c7096
	;; [unrolled: 1-line block ×10, first 2 shown]
	.long	374714364                       ; 0x1655affc
	.long	2601862091                      ; 0x9b1543cb
	.long	1168357273                      ; 0x45a3b799
	.long	376788629                       ; 0x16755695
	.long	728738466                       ; 0x2b6faaa2
	.long	1710922505                      ; 0x65fa9b09
	.long	1174181426                      ; 0x45fc9632
	;; [unrolled: 1-line block ×4, first 2 shown]
	.long	74930675                        ; 0x47759f3
	.long	3222680885                      ; 0xc0163535
	.long	752017703                       ; 0x2cd2e127
	.long	1815095408                      ; 0x6c302870
	.long	939691799                       ; 0x38028f17
	.long	3404352271                      ; 0xcaea4b0f
	.long	1985366287                      ; 0x7656490f
	.long	126135654                       ; 0x784ad66
	.long	65327713                        ; 0x3e4d261
	.long	3884301346                      ; 0xe785bc22
	.long	1822629733                      ; 0x6ca31f65
	;; [unrolled: 1-line block ×3, first 2 shown]
	.long	955981361                       ; 0x38fb1e31
	.long	3678532805                      ; 0xdb41f4c5
	.long	2616964783                      ; 0x9bfbb6af
	;; [unrolled: 1-line block ×5, first 2 shown]
	.long	480342712                       ; 0x1ca172b8
	.long	451634742                       ; 0x1aeb6636
	.long	1099609112                      ; 0x418ab418
	.long	236095606                       ; 0xe128876
	.long	1466950454                      ; 0x576fe336
	;; [unrolled: 2-line block ×3, first 2 shown]
	.long	2671873359                      ; 0x9f418d4f
	.long	1766257461                      ; 0x6946f335
	.long	317862862                       ; 0x12f233ce
	.long	551196237                       ; 0x20da964d
	.long	4193980239                      ; 0xf9fb0f4f
	.long	2006763654                      ; 0x779cc886
	;; [unrolled: 1-line block ×3, first 2 shown]
	.long	12728591                        ; 0xc2390f
	.long	2845888917                      ; 0xa9a0d195
	.long	1669184098                      ; 0x637dba62
	;; [unrolled: 1-line block ×8, first 2 shown]
	.long	942354812                       ; 0x382b317c
	.long	1005662613                      ; 0x3bf13195
	.long	3668152847                      ; 0xdaa3920f
	;; [unrolled: 1-line block ×7, first 2 shown]
	.long	422675402                       ; 0x193183ca
	.long	2291986911                      ; 0x889cf1df
	.long	2931444539                      ; 0xaeba4b3b
	.long	209352768                       ; 0xc7a7840
	.long	1354642198                      ; 0x50be3316
	.long	3029840461                      ; 0xb497b24d
	;; [unrolled: 1-line block ×6, first 2 shown]
	.long	587724229                       ; 0x2307f5c5
	.long	2759789003                      ; 0xa47f09cb
	.long	1770178720                      ; 0x6982c8a0
	;; [unrolled: 1-line block ×4, first 2 shown]
	.long	144772179                       ; 0x8a10c53
	.long	1572181309                      ; 0x5db5953d
	.long	3783114255                      ; 0xe17dbe0f
	;; [unrolled: 1-line block ×4, first 2 shown]
	.long	228084488                       ; 0xd984b08
	.long	4106643586                      ; 0xf4c66882
	.long	611095909                       ; 0x246c9565
	.long	3638977910                      ; 0xd8e66576
	;; [unrolled: 2-line block ×4, first 2 shown]
	.long	2427237699                      ; 0x90acb543
	.long	3018265496                      ; 0xb3e71398
	;; [unrolled: 1-line block ×3, first 2 shown]
	.long	692575565                       ; 0x2947dd4d
	.long	1487262638                      ; 0x58a5d3ae
	.long	2322365400                      ; 0x8a6c7bd8
	;; [unrolled: 1-line block ×6, first 2 shown]
	.long	954101391                       ; 0x38de6e8f
	.long	2989587005                      ; 0xb2317a3d
	.long	3946819548                      ; 0xeb3fafdc
	;; [unrolled: 1-line block ×4, first 2 shown]
	.long	359662140                       ; 0x1570023c
	.long	4058479705                      ; 0xf1e77c59
	.long	1306547382                      ; 0x4de054b6
	.long	514617018                       ; 0x1eac6eba
	.long	1685692791                      ; 0x6479a177
	.long	3370601554                      ; 0xc8e74c52
	;; [unrolled: 1-line block ×3, first 2 shown]
	.long	447798803                       ; 0x1ab0de13
	.long	3124262580                      ; 0xba3876b4
	.long	1841693810                      ; 0x6dc60472
	.long	583764638                       ; 0x22cb8a9e
	.long	853545489                       ; 0x32e01211
	.long	2614348705                      ; 0x9bd3cba1
	.long	1445696741                      ; 0x562b94e5
	;; [unrolled: 1-line block ×4, first 2 shown]
	.long	7404137                         ; 0x70fa69
	.long	3158806368                      ; 0xbc478f60
	.long	3487160245                      ; 0xcfd9d7b5
	;; [unrolled: 1-line block ×5, first 2 shown]
	.long	832215403                       ; 0x319a996b
	.long	4190877996                      ; 0xf9cbb92c
	.long	2360539465                      ; 0x8cb2f949
	;; [unrolled: 1-line block ×3, first 2 shown]
	.long	546018244                       ; 0x208b93c4
	.long	613443074                       ; 0x24906602
	.long	2523894977                      ; 0x966f94c1
	.long	998991923                       ; 0x3b8b6833
	.long	2569220540                      ; 0x992331bc
	.long	4221264346                      ; 0xfb9b61da
	;; [unrolled: 1-line block ×4, first 2 shown]
	.long	261584257                       ; 0xf977581
	.long	4172552877                      ; 0xf8b41aad
	.long	1174774061                      ; 0x4605a12d
	;; [unrolled: 1-line block ×9, first 2 shown]
	.long	65447704                        ; 0x3e6a718
	.long	3962131218                      ; 0xec295312
	.long	839088053                       ; 0x320377b5
	.long	4154193716                      ; 0xf79bf734
	.long	1211888926                      ; 0x483bf51e
	.long	319402483                       ; 0x1309b1f3
	.long	3922826413                      ; 0xe9d194ad
	;; [unrolled: 3-line block ×3, first 2 shown]
	.long	1853729462                      ; 0x6e7daab6
	.long	2621029589                      ; 0x9c39bcd5
	.long	708558605                       ; 0x2a3bbf0d
	.long	1618007233                      ; 0x6070d4c1
	.long	2784732545                      ; 0xa5fba581
	.long	953859039                       ; 0x38dabbdf
	.long	921654620                       ; 0x36ef555c
	.long	477148727                       ; 0x1c70b637
	.long	3592256598                      ; 0xd61d7c56
	.long	2772318818                      ; 0xa53e3a62
	;; [unrolled: 1-line block ×13, first 2 shown]
	.long	243829114                       ; 0xe88897a
	.long	104328994                       ; 0x637ef22
	.long	3080249237                      ; 0xb798df95
	.long	2054985396                      ; 0x7a7c96b4
	.long	408961407                       ; 0x1860417f
	.long	2978652320                      ; 0xb18aa0a0
	.long	2412674552                      ; 0x8fce7df8
	;; [unrolled: 1-line block ×10, first 2 shown]
	.long	142666452                       ; 0x880ead4
	.long	531078813                       ; 0x1fa79e9d
	.long	1079142774                      ; 0x40526976
	.long	3437358350                      ; 0xcce1ed0e
	.long	635943961                       ; 0x25e7bc19
	.long	255576894                       ; 0xf3bcb3e
	.long	2991317718                      ; 0xb24be2d6
	.long	1208676456                      ; 0x480af068
	.long	247449774                       ; 0xebfc8ae
	.long	454879171                       ; 0x1b1ce7c3
	;; [unrolled: 1-line block ×3, first 2 shown]
	.long	3064123371                      ; 0xb6a2cfeb
	.long	336269028                       ; 0x140b0ee4
	.long	1137083842                      ; 0x43c685c2
	.long	959568850                       ; 0x3931dbd2
	.long	2508623991                      ; 0x95869077
	.long	3338418112                      ; 0xc6fc37c0
	;; [unrolled: 1-line block ×16, first 2 shown]
	.long	185143450                       ; 0xb09109a
	.long	889002925                       ; 0x34fd1bad
	.long	3999315013                      ; 0xee60b445
	.long	661455858                       ; 0x276d03f2
	.long	4026799358                      ; 0xf00414fe
	.long	3626504428                      ; 0xd82810ec
	;; [unrolled: 1-line block ×9, first 2 shown]
	.long	751400924                       ; 0x2cc977dc
	.long	2906720214                      ; 0xad4107d6
	.long	1210002606                      ; 0x481f2cae
	.long	916508568                       ; 0x36a0cf98
	.long	1728487600                      ; 0x6706a0b0
	.long	2478884914                      ; 0x93c0c832
	;; [unrolled: 1-line block ×5, first 2 shown]
	.long	701713417                       ; 0x29d34c09
	.long	512784398                       ; 0x1e90780e
	.long	1255240210                      ; 0x4ad17212
	.long	3665676113                      ; 0xda7dc751
	;; [unrolled: 1-line block ×6, first 2 shown]
	.long	369054145                       ; 0x15ff51c1
	.long	4011912082                      ; 0xef20eb92
	.long	748537647                       ; 0x2c9dc72f
	.long	1626721797                      ; 0x60f5ce05
	.long	852497405                       ; 0x32d013fd
	.long	168721778                       ; 0xa0e7d72
	.long	3091138383                      ; 0xb83f074f
	.long	3781228998                      ; 0xe160f9c6
	;; [unrolled: 1-line block ×3, first 2 shown]
	.long	838267218                       ; 0x31f6f152
	.long	2710632450                      ; 0xa190f802
	.long	690892139                       ; 0x292e2d6b
	.long	2484870604                      ; 0x941c1dcc
	.long	4151302318                      ; 0xf76fd8ae
	;; [unrolled: 1-line block ×3, first 2 shown]
	.long	727768263                       ; 0x2b60dcc7
	.long	1075391038                      ; 0x40192a3e
	.long	1842903369                      ; 0x6dd87949
	;; [unrolled: 1-line block ×9, first 2 shown]
	.long	920496809                       ; 0x36ddaaa9
	.long	1406803705                      ; 0x53da1ef9
	.long	3163880457                      ; 0xbc94fc09
	;; [unrolled: 1-line block ×5, first 2 shown]
	.long	147277542                       ; 0x8c746e6
	.long	803170440                       ; 0x2fdf6888
	;; [unrolled: 1-line block ×3, first 2 shown]
	.long	3897549272                      ; 0xe84fe1d8
	.long	151390608                       ; 0x9060990
	.long	951639139                       ; 0x38b8dc63
	;; [unrolled: 1-line block ×3, first 2 shown]
	.long	1106545578                      ; 0x41f48baa
	.long	1514893712                      ; 0x5a4b7190
	.long	998760135                       ; 0x3b87dec7
	.long	2557458623                      ; 0x986fb8bf
	.long	4109877399                      ; 0xf4f7c097
	.long	578824730                       ; 0x22802a1a
	.long	2174064027                      ; 0x8195959b
	.long	3352513900                      ; 0xc7d34d6c
	;; [unrolled: 1-line block ×3, first 2 shown]
	.long	911932439                       ; 0x365afc17
	.long	2030004973                      ; 0x78ff6aed
	.long	3283902592                      ; 0xc3bc6080
	;; [unrolled: 1-line block ×3, first 2 shown]
	.long	250434692                       ; 0xeed5484
	.long	352122318                       ; 0x14fcf5ce
	;; [unrolled: 1-line block ×4, first 2 shown]
	.long	2555395772                      ; 0x98503ebc
	.long	2307695537                      ; 0x898ca3b1
	;; [unrolled: 1-line block ×4, first 2 shown]
	.long	734614254                       ; 0x2bc952ee
	.long	3276420511                      ; 0xc34a359f
	.long	2636087597                      ; 0x9d1f812d
	;; [unrolled: 1-line block ×4, first 2 shown]
	.long	429736987                       ; 0x199d441b
	.long	3755125580                      ; 0xdfd2ab4c
	.long	1935957937                      ; 0x73645fb1
	;; [unrolled: 1-line block ×9, first 2 shown]
	.long	810916769                       ; 0x30559ba1
	.long	2263633079                      ; 0x86ec4cb7
	.long	3863543843                      ; 0xe6490023
	;; [unrolled: 1-line block ×5, first 2 shown]
	.long	961498236                       ; 0x394f4c7c
	.long	1515309045                      ; 0x5a51c7f5
	.long	1564424234                      ; 0x5d3f382a
	;; [unrolled: 1-line block ×4, first 2 shown]
	.long	78621171                        ; 0x4afa9f3
	.long	3575132456                      ; 0xd5183128
	.long	2958793283                      ; 0xb05b9a43
	.long	387554009                       ; 0x17199ad9
	.long	688827573                       ; 0x290eacb5
	.long	3833764146                      ; 0xe4829932
	.long	2611524056                      ; 0x9ba8b1d8
	;; [unrolled: 1-line block ×13, first 2 shown]
	.long	12264437                        ; 0xbb23f5
	.long	1313835999                      ; 0x4e4f8bdf
	.long	556653278                       ; 0x212ddade
	.long	917105970                       ; 0x36a9ed32
	.long	1471530347                      ; 0x57b5c56b
	.long	2010243509                      ; 0x77d1e1b5
	;; [unrolled: 1-line block ×4, first 2 shown]
	.long	273352191                       ; 0x104b05ff
	.long	2505795417                      ; 0x955b6759
	.long	1336824946                      ; 0x4fae5472
	;; [unrolled: 1-line block ×7, first 2 shown]
	.long	713597958                       ; 0x2a88a406
	.long	4059691816                      ; 0xf1f9fb28
	.long	2812811116                      ; 0xa7a8176c
	;; [unrolled: 1-line block ×3, first 2 shown]
	.long	932688463                       ; 0x3797b24f
	.long	3001334051                      ; 0xb2e4b923
	.long	2028368589                      ; 0x78e672cd
	.long	830582457                       ; 0x3181aeb9
	.long	3964293916                      ; 0xec4a531c
	.long	4276849132                      ; 0xfeeb89ec
	.long	1828058403                      ; 0x6cf5f523
	.long	1351688755                      ; 0x50912233
	.long	2113265048                      ; 0x7df5dd98
	.long	42517349                        ; 0x288c365
	.long	3100438883                      ; 0xb8ccf163
	.long	1137792178                      ; 0x43d154b2
	.long	1479076106                      ; 0x5828e90a
	.long	463377892                       ; 0x1b9e95e4
	.long	3964913740                      ; 0xec53c84c
	.long	2422362185                      ; 0x90625049
	.long	436113863                       ; 0x19fe91c7
	.long	2044139049                      ; 0x79d71629
	.long	4197323265                      ; 0xfa2e1201
	;; [unrolled: 1-line block ×9, first 2 shown]
	.long	250035802                       ; 0xee73e5a
	.long	10186306                        ; 0x9b6e42
	.long	263338568                       ; 0xfb23a48
	.long	3899157617                      ; 0xe8686c71
	.long	3679157076                      ; 0xdb4b7b54
	;; [unrolled: 1-line block ×4, first 2 shown]
	.long	899008067                       ; 0x3595c643
	.long	3679828833                      ; 0xdb55bb61
	.long	711086272                       ; 0x2a6250c0
	.long	2952963707                      ; 0xb002a67b
	.long	3373894808                      ; 0xc9198c98
	.long	445540851                       ; 0x1a8e69f3
	.long	3405637490                      ; 0xcafde772
	.long	1343291195                      ; 0x5010ff3b
	.long	730888681                       ; 0x2b9079e9
	.long	507768703                       ; 0x1e43ef7f
	.long	3473963321                      ; 0xcf107939
	.long	1779803564                      ; 0x6a15a5ac
	;; [unrolled: 1-line block ×4, first 2 shown]
	.long	838267218                       ; 0x31f6f152
	.long	2710632450                      ; 0xa190f802
	.long	2431224659                      ; 0x90e98b53
	;; [unrolled: 1-line block ×5, first 2 shown]
	.long	727768263                       ; 0x2b60dcc7
	.long	4012573268                      ; 0xef2b0254
	.long	1842903369                      ; 0x6dd87949
	;; [unrolled: 1-line block ×9, first 2 shown]
	.long	920496809                       ; 0x36ddaaa9
	.long	400609988                       ; 0x17e0d2c4
	.long	3163880457                      ; 0xbc94fc09
	.long	1540551653                      ; 0x5bd2f3e5
	;; [unrolled: 1-line block ×5, first 2 shown]
	.long	803170440                       ; 0x2fdf6888
	.long	821275940                       ; 0x30f3ad24
	.long	3897549272                      ; 0xe84fe1d8
	.long	151390608                       ; 0x9060990
	.long	194431797                       ; 0xb96cb35
	;; [unrolled: 1-line block ×3, first 2 shown]
	.long	1106545578                      ; 0x41f48baa
	.long	1514893712                      ; 0x5a4b7190
	.long	998760135                       ; 0x3b87dec7
	.long	62528087                        ; 0x3ba1a57
	.long	4109877399                      ; 0xf4f7c097
	.long	578824730                       ; 0x22802a1a
	.long	2174064027                      ; 0x8195959b
	.long	3352513900                      ; 0xc7d34d6c
	.long	3495516649                      ; 0xd05959e9
	.long	911932439                       ; 0x365afc17
	.long	2030004973                      ; 0x78ff6aed
	.long	3283902592                      ; 0xc3bc6080
	;; [unrolled: 1-line block ×4, first 2 shown]
	.long	352122318                       ; 0x14fcf5ce
	.long	977153640                       ; 0x3a3e2e68
	;; [unrolled: 1-line block ×3, first 2 shown]
	.long	2555395772                      ; 0x98503ebc
	.long	756528792                       ; 0x2d17b698
	.long	2593565626                      ; 0x9a96abba
	.long	3738143618                      ; 0xdecf8b82
	.long	734614254                       ; 0x2bc952ee
	.long	3276420511                      ; 0xc34a359f
	.long	4086313763                      ; 0xf3903323
	;; [unrolled: 1-line block ×4, first 2 shown]
	.long	429736987                       ; 0x199d441b
	.long	3755125580                      ; 0xdfd2ab4c
	.long	526056489                       ; 0x1f5afc29
	.long	3300547146                      ; 0xc4ba5a4a
	.long	3089498232                      ; 0xb8260078
	;; [unrolled: 1-line block ×4, first 2 shown]
	.long	82235109                        ; 0x4e6cee5
	.long	1061842570                      ; 0x3f4a6e8a
	.long	3666470174                      ; 0xda89e51e
	.long	810916769                       ; 0x30559ba1
	.long	2263633079                      ; 0x86ec4cb7
	.long	1110270726                      ; 0x422d6306
	;; [unrolled: 1-line block ×5, first 2 shown]
	.long	961498236                       ; 0x394f4c7c
	.long	1840197918                      ; 0x6daf311e
	.long	1564424234                      ; 0x5d3f382a
	;; [unrolled: 1-line block ×4, first 2 shown]
	.long	78621171                        ; 0x4afa9f3
	.long	3690913528                      ; 0xdbfedef8
	.long	2958793283                      ; 0xb05b9a43
	.long	387554009                       ; 0x17199ad9
	.long	688827573                       ; 0x290eacb5
	.long	3833764146                      ; 0xe4829932
	.long	3626285597                      ; 0xd824ba1d
	;; [unrolled: 1-line block ×11, first 2 shown]
	.long	63358970                        ; 0x3c6c7fa
	.long	1185831033                      ; 0x46ae5879
	.long	12264437                        ; 0xbb23f5
	.long	1313835999                      ; 0x4e4f8bdf
	.long	556653278                       ; 0x212ddade
	.long	3918754976                      ; 0xe99374a0
	.long	1471530347                      ; 0x57b5c56b
	;; [unrolled: 1-line block ×10, first 2 shown]
	.long	902314853                       ; 0x35c83b65
	.long	3478581038                      ; 0xcf56ef2e
	.long	4027859424                      ; 0xf01441e0
	.long	713597958                       ; 0x2a88a406
	.long	4059691816                      ; 0xf1f9fb28
	.long	1462989647                      ; 0x5733734f
	;; [unrolled: 1-line block ×3, first 2 shown]
	.long	932688463                       ; 0x3797b24f
	.long	3001334051                      ; 0xb2e4b923
	.long	2028368589                      ; 0x78e672cd
	;; [unrolled: 1-line block ×8, first 2 shown]
	.long	42517349                        ; 0x288c365
	.long	3100438883                      ; 0xb8ccf163
	.long	1137792178                      ; 0x43d154b2
	;; [unrolled: 1-line block ×3, first 2 shown]
	.long	140519541                       ; 0x8602875
	.long	3964913740                      ; 0xec53c84c
	.long	2422362185                      ; 0x90625049
	.long	436113863                       ; 0x19fe91c7
	.long	2044139049                      ; 0x79d71629
	.long	226785542                       ; 0xd847906
	.long	3275185975                      ; 0xc3375f37
	.long	2655265571                      ; 0x9e442323
	;; [unrolled: 1-line block ×4, first 2 shown]
	.long	46428973                        ; 0x2c4732d
	.long	1739051417                      ; 0x67a7d199
	.long	2393774399                      ; 0x8eae193f
	.long	250035802                       ; 0xee73e5a
	.long	10186306                        ; 0x9b6e42
	.long	4118320101                      ; 0xf57893e5
	.long	3899157617                      ; 0xe8686c71
	;; [unrolled: 1-line block ×7, first 2 shown]
	.long	711086272                       ; 0x2a6250c0
	.long	2952963707                      ; 0xb002a67b
	.long	3373894808                      ; 0xc9198c98
	;; [unrolled: 1-line block ×5, first 2 shown]
	.long	730888681                       ; 0x2b9079e9
	.long	507768703                       ; 0x1e43ef7f
	.long	2930510271                      ; 0xaeac09bf
	.long	1779803564                      ; 0x6a15a5ac
	;; [unrolled: 1-line block ×4, first 2 shown]
	.long	838267218                       ; 0x31f6f152
	.long	1817693489                      ; 0x6c57cd31
	.long	2431224659                      ; 0x90e98b53
	;; [unrolled: 1-line block ×15, first 2 shown]
	.long	241001958                       ; 0xe5d65e6
	.long	400609988                       ; 0x17e0d2c4
	.long	3163880457                      ; 0xbc94fc09
	.long	1540551653                      ; 0x5bd2f3e5
	;; [unrolled: 1-line block ×5, first 2 shown]
	.long	803170440                       ; 0x2fdf6888
	.long	821275940                       ; 0x30f3ad24
	.long	3897549272                      ; 0xe84fe1d8
	.long	1451986523                      ; 0x568b8e5b
	.long	194431797                       ; 0xb96cb35
	.long	904639695                       ; 0x35ebb4cf
	.long	1106545578                      ; 0x41f48baa
	.long	1514893712                      ; 0x5a4b7190
	;; [unrolled: 1-line block ×3, first 2 shown]
	.long	62528087                        ; 0x3ba1a57
	.long	4109877399                      ; 0xf4f7c097
	.long	578824730                       ; 0x22802a1a
	.long	2174064027                      ; 0x8195959b
	.long	461571251                       ; 0x1b8304b3
	;; [unrolled: 2-line block ×3, first 2 shown]
	.long	2030004973                      ; 0x78ff6aed
	.long	3283902592                      ; 0xc3bc6080
	;; [unrolled: 1-line block ×4, first 2 shown]
	.long	352122318                       ; 0x14fcf5ce
	.long	977153640                       ; 0x3a3e2e68
	;; [unrolled: 1-line block ×3, first 2 shown]
	.long	1019387737                      ; 0x3cc29f59
	.long	756528792                       ; 0x2d17b698
	.long	2593565626                      ; 0x9a96abba
	.long	3738143618                      ; 0xdecf8b82
	.long	734614254                       ; 0x2bc952ee
	.long	999431451                       ; 0x3b921d1b
	.long	4086313763                      ; 0xf3903323
	.long	4157371578                      ; 0xf7cc74ba
	;; [unrolled: 1-line block ×3, first 2 shown]
	.long	429736987                       ; 0x199d441b
	.long	140091634                       ; 0x859a0f2
	;; [unrolled: 1-line block ×3, first 2 shown]
	.long	3300547146                      ; 0xc4ba5a4a
	.long	3089498232                      ; 0xb8260078
	;; [unrolled: 1-line block ×4, first 2 shown]
	.long	82235109                        ; 0x4e6cee5
	.long	1061842570                      ; 0x3f4a6e8a
	.long	3666470174                      ; 0xda89e51e
	.long	810916769                       ; 0x30559ba1
	.long	3663992550                      ; 0xda6416e6
	.long	1110270726                      ; 0x422d6306
	;; [unrolled: 1-line block ×10, first 2 shown]
	.long	978199281                       ; 0x3a4e22f1
	.long	3690913528                      ; 0xdbfedef8
	.long	2958793283                      ; 0xb05b9a43
	.long	387554009                       ; 0x17199ad9
	.long	688827573                       ; 0x290eacb5
	;; [unrolled: 1-line block ×3, first 2 shown]
	.long	3626285597                      ; 0xd824ba1d
	.long	2296780370                      ; 0x88e61652
	;; [unrolled: 1-line block ×10, first 2 shown]
	.long	63358970                        ; 0x3c6c7fa
	.long	1185831033                      ; 0x46ae5879
	.long	12264437                        ; 0xbb23f5
	.long	1313835999                      ; 0x4e4f8bdf
	.long	3872277948                      ; 0xe6ce45bc
	;; [unrolled: 1-line block ×12, first 2 shown]
	.long	902314853                       ; 0x35c83b65
	.long	3478581038                      ; 0xcf56ef2e
	.long	4027859424                      ; 0xf01441e0
	.long	713597958                       ; 0x2a88a406
	.long	2198246306                      ; 0x830693a2
	.long	1462989647                      ; 0x5733734f
	;; [unrolled: 1-line block ×3, first 2 shown]
	.long	932688463                       ; 0x3797b24f
	.long	3001334051                      ; 0xb2e4b923
	.long	2374736511                      ; 0x8d8b9a7f
	;; [unrolled: 1-line block ×8, first 2 shown]
	.long	42517349                        ; 0x288c365
	.long	3100438883                      ; 0xb8ccf163
	.long	1137792178                      ; 0x43d154b2
	;; [unrolled: 1-line block ×3, first 2 shown]
	.long	140519541                       ; 0x8602875
	.long	3964913740                      ; 0xec53c84c
	.long	2422362185                      ; 0x90625049
	.long	436113863                       ; 0x19fe91c7
	.long	3460540392                      ; 0xce43a7e8
	.long	226785542                       ; 0xd847906
	.long	3275185975                      ; 0xc3375f37
	.long	2655265571                      ; 0x9e442323
	;; [unrolled: 1-line block ×4, first 2 shown]
	.long	46428973                        ; 0x2c4732d
	.long	1739051417                      ; 0x67a7d199
	.long	2393774399                      ; 0x8eae193f
	.long	250035802                       ; 0xee73e5a
	.long	1986226858                      ; 0x76636aaa
	.long	4118320101                      ; 0xf57893e5
	;; [unrolled: 1-line block ×5, first 2 shown]
	.long	551117761                       ; 0x20d963c1
	.long	4267866849                      ; 0xfe627ae1
	.long	3679828833                      ; 0xdb55bb61
	.long	711086272                       ; 0x2a6250c0
	.long	2952963707                      ; 0xb002a67b
	.long	1667866621                      ; 0x63699ffd
	;; [unrolled: 1-line block ×5, first 2 shown]
	.long	730888681                       ; 0x2b9079e9
	.long	2381246695                      ; 0x8deef0e7
	.long	2930510271                      ; 0xaeac09bf
	;; [unrolled: 1-line block ×21, first 2 shown]
	.long	241001958                       ; 0xe5d65e6
	.long	400609988                       ; 0x17e0d2c4
	.long	3163880457                      ; 0xbc94fc09
	.long	1540551653                      ; 0x5bd2f3e5
	;; [unrolled: 1-line block ×5, first 2 shown]
	.long	803170440                       ; 0x2fdf6888
	.long	821275940                       ; 0x30f3ad24
	.long	3485313735                      ; 0xcfbdaac7
	.long	1451986523                      ; 0x568b8e5b
	.long	194431797                       ; 0xb96cb35
	.long	904639695                       ; 0x35ebb4cf
	.long	1106545578                      ; 0x41f48baa
	.long	1633417190                      ; 0x615bf7e6
	;; [unrolled: 1-line block ×3, first 2 shown]
	.long	62528087                        ; 0x3ba1a57
	.long	4109877399                      ; 0xf4f7c097
	.long	578824730                       ; 0x22802a1a
	.long	3671726812                      ; 0xdada1adc
	.long	461571251                       ; 0x1b8304b3
	;; [unrolled: 2-line block ×3, first 2 shown]
	.long	2030004973                      ; 0x78ff6aed
	.long	2002341352                      ; 0x77594de8
	;; [unrolled: 1-line block ×4, first 2 shown]
	.long	352122318                       ; 0x14fcf5ce
	.long	977153640                       ; 0x3a3e2e68
	;; [unrolled: 1-line block ×3, first 2 shown]
	.long	1019387737                      ; 0x3cc29f59
	.long	756528792                       ; 0x2d17b698
	.long	2593565626                      ; 0x9a96abba
	.long	3738143618                      ; 0xdecf8b82
	;; [unrolled: 1-line block ×3, first 2 shown]
	.long	999431451                       ; 0x3b921d1b
	.long	4086313763                      ; 0xf3903323
	.long	4157371578                      ; 0xf7cc74ba
	;; [unrolled: 1-line block ×4, first 2 shown]
	.long	140091634                       ; 0x859a0f2
	.long	526056489                       ; 0x1f5afc29
	.long	3300547146                      ; 0xc4ba5a4a
	.long	3089498232                      ; 0xb8260078
	;; [unrolled: 1-line block ×4, first 2 shown]
	.long	82235109                        ; 0x4e6cee5
	.long	1061842570                      ; 0x3f4a6e8a
	.long	3666470174                      ; 0xda89e51e
	.long	945994616                       ; 0x3862bb78
	.long	3663992550                      ; 0xda6416e6
	.long	1110270726                      ; 0x422d6306
	.long	1804937521                      ; 0x6b952931
	.long	2774236887                      ; 0xa55b7ed7
	.long	3776581315                      ; 0xe11a0ec3
	.long	2203639366                      ; 0x8358de46
	.long	1840197918                      ; 0x6daf311e
	.long	1564424234                      ; 0x5d3f382a
	.long	2276602447                      ; 0x87b2324f
	.long	928117829                       ; 0x3751f445
	.long	978199281                       ; 0x3a4e22f1
	.long	3690913528                      ; 0xdbfedef8
	.long	2958793283                      ; 0xb05b9a43
	.long	387554009                       ; 0x17199ad9
	.long	2817496615                      ; 0xa7ef9627
	.long	375113876                       ; 0x165bc894
	.long	3626285597                      ; 0xd824ba1d
	.long	2296780370                      ; 0x88e61652
	;; [unrolled: 1-line block ×8, first 2 shown]
	.long	821902776                       ; 0x30fd3db8
	.long	1631078873                      ; 0x613849d9
	.long	63358970                        ; 0x3c6c7fa
	.long	1185831033                      ; 0x46ae5879
	.long	12264437                        ; 0xbb23f5
	.long	3192617499                      ; 0xbe4b7a1b
	.long	3872277948                      ; 0xe6ce45bc
	;; [unrolled: 1-line block ×12, first 2 shown]
	.long	902314853                       ; 0x35c83b65
	.long	3478581038                      ; 0xcf56ef2e
	.long	4027859424                      ; 0xf01441e0
	;; [unrolled: 1-line block ×6, first 2 shown]
	.long	932688463                       ; 0x3797b24f
	.long	4018333691                      ; 0xef82e7fb
	.long	2374736511                      ; 0x8d8b9a7f
	;; [unrolled: 1-line block ×8, first 2 shown]
	.long	42517349                        ; 0x288c365
	.long	3100438883                      ; 0xb8ccf163
	.long	1645455709                      ; 0x6213a95d
	;; [unrolled: 1-line block ×3, first 2 shown]
	.long	140519541                       ; 0x8602875
	.long	3964913740                      ; 0xec53c84c
	.long	2422362185                      ; 0x90625049
	;; [unrolled: 1-line block ×4, first 2 shown]
	.long	226785542                       ; 0xd847906
	.long	3275185975                      ; 0xc3375f37
	.long	2655265571                      ; 0x9e442323
	;; [unrolled: 1-line block ×4, first 2 shown]
	.long	46428973                        ; 0x2c4732d
	.long	1739051417                      ; 0x67a7d199
	.long	2393774399                      ; 0x8eae193f
	.long	2257001236                      ; 0x86871b14
	.long	1986226858                      ; 0x76636aaa
	.long	4118320101                      ; 0xf57893e5
	.long	3899157617                      ; 0xe8686c71
	.long	3679157076                      ; 0xdb4b7b54
	.long	3707520907                      ; 0xdcfc478b
	.long	551117761                       ; 0x20d963c1
	.long	4267866849                      ; 0xfe627ae1
	.long	3679828833                      ; 0xdb55bb61
	.long	711086272                       ; 0x2a6250c0
	.long	570153549                       ; 0x21fbda4d
	.long	1667866621                      ; 0x63699ffd
	.long	3662249794                      ; 0xda497f42
	;; [unrolled: 1-line block ×4, first 2 shown]
	.long	112368058                       ; 0x6b299ba
	.long	2615115584                      ; 0x9bdf7f40
	.long	2865130041                      ; 0xaac66a39
	.long	357584504                       ; 0x15504e78
	.long	528807633                       ; 0x1f84f6d1
	.long	1816055434                      ; 0x6c3ece8a
	.long	2854850066                      ; 0xaa298e12
	.long	190222907                       ; 0xb56923b
	.long	1014915859                      ; 0x3c7e6313
	.long	3472967123                      ; 0xcf0145d3
	;; [unrolled: 1-line block ×4, first 2 shown]
	.long	540430076                       ; 0x20364efc
	.long	2087143725                      ; 0x7c67492d
	.long	1571283916                      ; 0x5da7e3cc
	.long	1604766425                      ; 0x5fa6cad9
	.long	934199876                       ; 0x37aec244
	.long	3359569795                      ; 0xc83ef783
	.long	4168578472                      ; 0xf87775a8
	.long	1745876717                      ; 0x680ff6ed
	;; [unrolled: 4-line block ×3, first 2 shown]
	.long	2615245404                      ; 0x9be17a5c
	.long	2410035461                      ; 0x8fa63905
	;; [unrolled: 1-line block ×11, first 2 shown]
	.long	782363735                       ; 0x2ea1ec57
	.long	2242531852                      ; 0x85aa520c
	.long	4206829780                      ; 0xfabf20d4
	.long	1486885236                      ; 0x58a01174
	.long	3764707851                      ; 0xe064e20b
	.long	1945614253                      ; 0x73f7b7ad
	.long	1147926733                      ; 0x446bf8cd
	.long	701960774                       ; 0x29d71246
	.long	3435251514                      ; 0xccc1c73a
	.long	3626050187                      ; 0xd821228b
	.long	3587799538                      ; 0xd5d979f2
	.long	2399216643                      ; 0x8f012403
	.long	3217822006                      ; 0xbfcc1136
	.long	3600044386                      ; 0xd6945162
	;; [unrolled: 7-line block ×3, first 2 shown]
	.long	2284776380                      ; 0x882eebbc
	.long	2711956471                      ; 0xa1a52bf7
	;; [unrolled: 1-line block ×6, first 2 shown]
	.long	894405781                       ; 0x354f8c95
	.long	582621606                       ; 0x22ba19a6
	.long	1274260631                      ; 0x4bf3ac97
	.long	763432985                       ; 0x2d811019
	.long	1862236664                      ; 0x6eff79f8
	.long	10249416                        ; 0x9c64c8
	.long	3838574116                      ; 0xe4cbfe24
	.long	1912270458                      ; 0x71faee7a
	;; [unrolled: 1-line block ×4, first 2 shown]
	.long	312119069                       ; 0x129a8f1d
	.long	1812714569                      ; 0x6c0bd449
	.long	2729307370                      ; 0xa2adecea
	.long	3045249652                      ; 0xb582d274
	.long	303684944                       ; 0x1219dd50
	.long	503720764                       ; 0x1e062b3c
	.long	4029412414                      ; 0xf02bf43e
	.long	4101616421                      ; 0xf479b325
	;; [unrolled: 1-line block ×4, first 2 shown]
	.long	145713434                       ; 0x8af691a
	.long	2918444923                      ; 0xadf3ef7b
	.long	2099546237                      ; 0x7d24887d
	;; [unrolled: 1-line block ×23, first 2 shown]
	.long	644860154                       ; 0x266fc8fa
	.long	2465108160                      ; 0x92ee90c0
	.long	2358875673                      ; 0x8c999619
	;; [unrolled: 1-line block ×4, first 2 shown]
	.long	416443047                       ; 0x18d26aa7
	.long	3298583974                      ; 0xc49c65a6
	.long	1030877276                      ; 0x3d71f05c
	;; [unrolled: 1-line block ×13, first 2 shown]
	.long	54280556                        ; 0x33c416c
	.long	4169041146                      ; 0xf87e84fa
	.long	3130638398                      ; 0xba99c03e
	;; [unrolled: 1-line block ×4, first 2 shown]
	.long	916420843                       ; 0x369f78eb
	.long	938920758                       ; 0x37f6cb36
	.long	3425021599                      ; 0xcc25ae9f
	.long	1528477728                      ; 0x5b1ab820
	;; [unrolled: 1-line block ×4, first 2 shown]
	.long	936528538                       ; 0x37d24a9a
	.long	4174817780                      ; 0xf8d6a9f4
	.long	2541489033                      ; 0x977c0b89
	;; [unrolled: 1-line block ×8, first 2 shown]
	.long	332823408                       ; 0x13d67b70
	.long	2505138276                      ; 0x95516064
	.long	3811707598                      ; 0xe3320ace
	.long	373987627                       ; 0x164a992b
	.long	4263703898                      ; 0xfe22f55a
	.long	1668946560                      ; 0x637a1a80
	;; [unrolled: 1-line block ×6, first 2 shown]
	.long	549232331                       ; 0x20bc9ecb
	.long	21447814                        ; 0x1474486
	.long	1647238011                      ; 0x622edb7b
	.long	3093799993                      ; 0xb867a439
	;; [unrolled: 1-line block ×7, first 2 shown]
	.long	856160888                       ; 0x3307fa78
	.long	2195536417                      ; 0x82dd3a21
	.long	3030463035                      ; 0xb4a1323b
	;; [unrolled: 1-line block ×3, first 2 shown]
	.long	896055051                       ; 0x3568b70b
	.long	1967105456                      ; 0x753fa5b0
	.long	2093562169                      ; 0x7cc93939
	;; [unrolled: 1-line block ×3, first 2 shown]
	.long	546374698                       ; 0x2091042a
	.long	1372591815                      ; 0x51d016c7
	.long	3773616637                      ; 0xe0ecd1fd
	.long	349073007                       ; 0x14ce6e6f
	.long	1331102855                      ; 0x4f570487
	.long	3035367896                      ; 0xb4ec09d8
	;; [unrolled: 1-line block ×4, first 2 shown]
	.long	74466398                        ; 0x470445e
	.long	1140488004                      ; 0x43fa7744
	.long	855606859                       ; 0x32ff864b
	.long	3803728487                      ; 0xe2b84a67
	.long	3589743162                      ; 0xd5f7223a
	;; [unrolled: 1-line block ×8, first 2 shown]
	.long	163276737                       ; 0x9bb67c1
	.long	1526772858                      ; 0x5b00b47a
	.long	3047139947                      ; 0xb59faa6b
	.long	3150695453                      ; 0xbbcbcc1d
	.long	2583795468                      ; 0x9a01970c
	.long	3628272447                      ; 0xd8430b3f
	.long	305282258                       ; 0x12323cd2
	.long	2151108134                      ; 0x80374e26
	.long	2905708853                      ; 0xad319935
	.long	1052800761                      ; 0x3ec076f9
	.long	3354632338                      ; 0xc7f3a092
	.long	1017036861                      ; 0x3c9ec03d
	.long	2453680791                      ; 0x92403297
	.long	2673902555                      ; 0x9f6083db
	.long	1622154585                      ; 0x60b01d59
	.long	2893733051                      ; 0xac7adcbb
	.long	3888482522                      ; 0xe7c588da
	.long	306284440                       ; 0x12418798
	.long	3245137245                      ; 0xc16cdd5d
	.long	3480776670                      ; 0xcf786fde
	;; [unrolled: 1-line block ×15, first 2 shown]
	.long	435047591                       ; 0x19ee4ca7
	.long	2999350446                      ; 0xb2c674ae
	.long	575044884                       ; 0x22467d14
	.long	1001339111                      ; 0x3baf38e7
	;; [unrolled: 2-line block ×3, first 2 shown]
	.long	2104489492                      ; 0x7d6ff614
	.long	2494528446                      ; 0x94af7bbe
	;; [unrolled: 1-line block ×8, first 2 shown]
	.long	87870515                        ; 0x53ccc33
	.long	958195816                       ; 0x391ce868
	.long	380666771                       ; 0x16b08393
	.long	3062272732                      ; 0xb68692dc
	.long	4178548642                      ; 0xf90f97a2
	;; [unrolled: 1-line block ×3, first 2 shown]
	.long	888566831                       ; 0x34f6742f
	.long	3386636024                      ; 0xc9dbf6f8
	.long	1636806704                      ; 0x618fb030
	;; [unrolled: 1-line block ×8, first 2 shown]
	.long	14436957                        ; 0xdc4a5d
	.long	913966574                       ; 0x367a05ee
	.long	1724553886                      ; 0x66ca9a9e
	.long	2015261135                      ; 0x781e71cf
	;; [unrolled: 1-line block ×4, first 2 shown]
	.long	110865735                       ; 0x69bad47
	.long	2913800286                      ; 0xadad105e
	.long	4131469475                      ; 0xf64138a3
	.long	315962755                       ; 0x12d53583
	.long	1531174227                      ; 0x5b43dd53
	.long	1226678476                      ; 0x491da0cc
	;; [unrolled: 1-line block ×4, first 2 shown]
	.long	539834883                       ; 0x202d3a03
	.long	2871306264                      ; 0xab24a818
	.long	3333932675                      ; 0xc6b7c683
	;; [unrolled: 1-line block ×4, first 2 shown]
	.long	464682640                       ; 0x1bb27e90
	.long	1786180352                      ; 0x6a76f300
	.long	162599143                       ; 0x9b110e7
	.long	817038005                       ; 0x30b302b5
	.long	3146256537                      ; 0xbb881099
	.long	1676400403                      ; 0x63ebd713
	;; [unrolled: 1-line block ×3, first 2 shown]
	.long	702610427                       ; 0x29e0fbfb
	.long	4005124049                      ; 0xeeb957d1
	.long	1691076958                      ; 0x64cbc95e
	;; [unrolled: 1-line block ×12, first 2 shown]
	.long	968269281                       ; 0x39b69de1
	.long	2630991382                      ; 0x9cd1be16
	.long	2716444139                      ; 0xa1e9a5eb
	;; [unrolled: 1-line block ×5, first 2 shown]
	.long	843840414                       ; 0x324bfb9e
	.long	1277966236                      ; 0x4c2c379c
	.long	4141095880                      ; 0xf6d41bc8
	.long	715016637                       ; 0x2a9e49bd
	.long	1255888181                      ; 0x4adb5535
	.long	1321941951                      ; 0x4ecb3bbf
	;; [unrolled: 1-line block ×9, first 2 shown]
	.long	974431991                       ; 0x3a14a6f7
	.long	347200257                       ; 0x14b1db01
	;; [unrolled: 1-line block ×3, first 2 shown]
	.long	2275848777                      ; 0x87a6b249
	.long	3732452739                      ; 0xde78b583
	.long	3708953729                      ; 0xdd122481
	.long	2688020866                      ; 0xa037f182
	.long	4185175489                      ; 0xf974b5c1
	.long	99605353                        ; 0x5efdb69
	.long	2387945286                      ; 0x8e552746
	.long	4224788259                      ; 0xfbd12723
	;; [unrolled: 1-line block ×5, first 2 shown]
	.long	238715294                       ; 0xe3a819e
	.long	2195536417                      ; 0x82dd3a21
	.long	3030463035                      ; 0xb4a1323b
	;; [unrolled: 1-line block ×3, first 2 shown]
	.long	896055051                       ; 0x3568b70b
	.long	3061240402                      ; 0xb676d252
	.long	2093562169                      ; 0x7cc93939
	;; [unrolled: 1-line block ×3, first 2 shown]
	.long	546374698                       ; 0x2091042a
	.long	1372591815                      ; 0x51d016c7
	.long	851057115                       ; 0x32ba19db
	.long	349073007                       ; 0x14ce6e6f
	.long	1331102855                      ; 0x4f570487
	.long	3035367896                      ; 0xb4ec09d8
	;; [unrolled: 1-line block ×4, first 2 shown]
	.long	74466398                        ; 0x470445e
	.long	1140488004                      ; 0x43fa7744
	.long	855606859                       ; 0x32ff864b
	.long	3803728487                      ; 0xe2b84a67
	.long	3838112757                      ; 0xe4c4f3f5
	;; [unrolled: 1-line block ×8, first 2 shown]
	.long	163276737                       ; 0x9bb67c1
	.long	1526772858                      ; 0x5b00b47a
	.long	3047139947                      ; 0xb59faa6b
	.long	3518918891                      ; 0xd1be70eb
	.long	2583795468                      ; 0x9a01970c
	.long	3628272447                      ; 0xd8430b3f
	.long	305282258                       ; 0x12323cd2
	.long	2151108134                      ; 0x80374e26
	.long	3555155951                      ; 0xd3e75fef
	.long	1052800761                      ; 0x3ec076f9
	.long	3354632338                      ; 0xc7f3a092
	.long	1017036861                      ; 0x3c9ec03d
	.long	2453680791                      ; 0x92403297
	.long	2394691836                      ; 0x8ebc18fc
	.long	1622154585                      ; 0x60b01d59
	.long	2893733051                      ; 0xac7adcbb
	.long	3888482522                      ; 0xe7c588da
	.long	306284440                       ; 0x12418798
	.long	2055552069                      ; 0x7a853c45
	.long	3480776670                      ; 0xcf786fde
	.long	2865396581                      ; 0xaaca7b65
	.long	3571456526                      ; 0xd4e01a0e
	.long	3284891766                      ; 0xc3cb7876
	;; [unrolled: 11-line block ×3, first 2 shown]
	.long	2999350446                      ; 0xb2c674ae
	.long	575044884                       ; 0x22467d14
	.long	1001339111                      ; 0x3baf38e7
	.long	625824120                       ; 0x254d5178
	.long	576119652                       ; 0x2256e364
	.long	2104489492                      ; 0x7d6ff614
	.long	2494528446                      ; 0x94af7bbe
	;; [unrolled: 1-line block ×4, first 2 shown]
	.long	786660788                       ; 0x2ee37db4
	.long	2438694106                      ; 0x915b84da
	.long	1443850072                      ; 0x560f6758
	;; [unrolled: 1-line block ×3, first 2 shown]
	.long	87870515                        ; 0x53ccc33
	.long	457955380                       ; 0x1b4bd834
	.long	380666771                       ; 0x16b08393
	.long	3062272732                      ; 0xb68692dc
	.long	4178548642                      ; 0xf90f97a2
	;; [unrolled: 1-line block ×12, first 2 shown]
	.long	14436957                        ; 0xdc4a5d
	.long	530062778                       ; 0x1f981dba
	.long	1724553886                      ; 0x66ca9a9e
	.long	2015261135                      ; 0x781e71cf
	;; [unrolled: 1-line block ×7, first 2 shown]
	.long	315962755                       ; 0x12d53583
	.long	1531174227                      ; 0x5b43dd53
	.long	2433363617                      ; 0x910a2ea1
	;; [unrolled: 1-line block ×4, first 2 shown]
	.long	539834883                       ; 0x202d3a03
	.long	2871306264                      ; 0xab24a818
	.long	2597546929                      ; 0x9ad36bb1
	;; [unrolled: 1-line block ×4, first 2 shown]
	.long	464682640                       ; 0x1bb27e90
	.long	1786180352                      ; 0x6a76f300
	.long	1165821797                      ; 0x457d0765
	.long	817038005                       ; 0x30b302b5
	.long	3146256537                      ; 0xbb881099
	.long	1676400403                      ; 0x63ebd713
	;; [unrolled: 1-line block ×16, first 2 shown]
	.long	968269281                       ; 0x39b69de1
	.long	2630991382                      ; 0x9cd1be16
	.long	4103280359                      ; 0xf49316e7
	;; [unrolled: 1-line block ×5, first 2 shown]
	.long	843840414                       ; 0x324bfb9e
	.long	1340474980                      ; 0x4fe60664
	.long	4141095880                      ; 0xf6d41bc8
	.long	715016637                       ; 0x2a9e49bd
	.long	1255888181                      ; 0x4adb5535
	.long	1321941951                      ; 0x4ecb3bbf
	.long	2512565938                      ; 0x95c2b6b2
	.long	1021629824                      ; 0x3ce4d580
	.long	3395369301                      ; 0xca613955
	.long	3912221525                      ; 0xe92fc355
	.long	2611782663                      ; 0x9baca407
	.long	2287272047                      ; 0x8855006f
	.long	2253029302                      ; 0x864a7fb6
	.long	974431991                       ; 0x3a14a6f7
	.long	347200257                       ; 0x14b1db01
	;; [unrolled: 1-line block ×3, first 2 shown]
	.long	3775715445                      ; 0xe10cd875
	.long	3732452739                      ; 0xde78b583
	;; [unrolled: 1-line block ×10, first 2 shown]
	.long	879682447                       ; 0x346ee38f
	.long	238715294                       ; 0xe3a819e
	.long	2195536417                      ; 0x82dd3a21
	.long	3030463035                      ; 0xb4a1323b
	;; [unrolled: 1-line block ×7, first 2 shown]
	.long	546374698                       ; 0x2091042a
	.long	1928060945                      ; 0x72ebe011
	.long	851057115                       ; 0x32ba19db
	.long	349073007                       ; 0x14ce6e6f
	.long	1331102855                      ; 0x4f570487
	.long	3035367896                      ; 0xb4ec09d8
	;; [unrolled: 1-line block ×4, first 2 shown]
	.long	74466398                        ; 0x470445e
	.long	1140488004                      ; 0x43fa7744
	.long	855606859                       ; 0x32ff864b
	.long	917923571                       ; 0x36b666f3
	.long	3838112757                      ; 0xe4c4f3f5
	.long	2748402856                      ; 0xa3d14ca8
	;; [unrolled: 1-line block ×4, first 2 shown]
	.long	995791756                       ; 0x3b5a938c
	.long	1038286760                      ; 0x3de2ffa8
	.long	2013737074                      ; 0x78073072
	.long	163276737                       ; 0x9bb67c1
	.long	1526772858                      ; 0x5b00b47a
	.long	1944370085                      ; 0x73e4bba5
	;; [unrolled: 1-line block ×5, first 2 shown]
	.long	305282258                       ; 0x12323cd2
	.long	685261037                       ; 0x28d840ed
	.long	3555155951                      ; 0xd3e75fef
	.long	1052800761                      ; 0x3ec076f9
	;; [unrolled: 1-line block ×20, first 2 shown]
	.long	683364318                       ; 0x28bb4fde
	.long	1615533805                      ; 0x604b16ed
	.long	1438727397                      ; 0x55c13ce5
	;; [unrolled: 1-line block ×6, first 2 shown]
	.long	575044884                       ; 0x22467d14
	.long	1001339111                      ; 0x3baf38e7
	.long	2406217399                      ; 0x8f6bf6b7
	.long	576119652                       ; 0x2256e364
	.long	2104489492                      ; 0x7d6ff614
	.long	2494528446                      ; 0x94af7bbe
	;; [unrolled: 1-line block ×4, first 2 shown]
	.long	786660788                       ; 0x2ee37db4
	.long	2438694106                      ; 0x915b84da
	.long	1443850072                      ; 0x560f6758
	;; [unrolled: 1-line block ×4, first 2 shown]
	.long	457955380                       ; 0x1b4bd834
	.long	380666771                       ; 0x16b08393
	.long	3062272732                      ; 0xb68692dc
	.long	4178548642                      ; 0xf90f97a2
	;; [unrolled: 1-line block ×13, first 2 shown]
	.long	530062778                       ; 0x1f981dba
	.long	1724553886                      ; 0x66ca9a9e
	.long	2015261135                      ; 0x781e71cf
	;; [unrolled: 1-line block ×7, first 2 shown]
	.long	315962755                       ; 0x12d53583
	.long	2891870900                      ; 0xac5e72b4
	.long	2433363617                      ; 0x910a2ea1
	;; [unrolled: 1-line block ×4, first 2 shown]
	.long	539834883                       ; 0x202d3a03
	.long	1390877376                      ; 0x52e71ac0
	.long	2597546929                      ; 0x9ad36bb1
	;; [unrolled: 1-line block ×4, first 2 shown]
	.long	464682640                       ; 0x1bb27e90
	.long	1405678725                      ; 0x53c8f485
	.long	1165821797                      ; 0x457d0765
	.long	817038005                       ; 0x30b302b5
	.long	3146256537                      ; 0xbb881099
	.long	1676400403                      ; 0x63ebd713
	.long	9522151                         ; 0x914be7
	.long	3239493343                      ; 0xc116bedf
	.long	4005124049                      ; 0xeeb957d1
	;; [unrolled: 1-line block ×13, first 2 shown]
	.long	968269281                       ; 0x39b69de1
	.long	2669129178                      ; 0x9f17adda
	.long	4103280359                      ; 0xf49316e7
	;; [unrolled: 1-line block ×8, first 2 shown]
	.long	715016637                       ; 0x2a9e49bd
	.long	1255888181                      ; 0x4adb5535
	.long	1290704077                      ; 0x4cee94cd
	.long	2512565938                      ; 0x95c2b6b2
	.long	1021629824                      ; 0x3ce4d580
	.long	3395369301                      ; 0xca613955
	.long	3912221525                      ; 0xe92fc355
	.long	767420943                       ; 0x2dbdea0f
	.long	2287272047                      ; 0x8855006f
	.long	2253029302                      ; 0x864a7fb6
	.long	974431991                       ; 0x3a14a6f7
	.long	347200257                       ; 0x14b1db01
	;; [unrolled: 1-line block ×3, first 2 shown]
	.long	3775715445                      ; 0xe10cd875
	.long	3732452739                      ; 0xde78b583
	;; [unrolled: 1-line block ×10, first 2 shown]
	.long	879682447                       ; 0x346ee38f
	.long	238715294                       ; 0xe3a819e
	.long	2195536417                      ; 0x82dd3a21
	.long	3030463035                      ; 0xb4a1323b
	.long	774839173                       ; 0x2e2f1b85
	.long	3975397430                      ; 0xecf3c036
	.long	3061240402                      ; 0xb676d252
	;; [unrolled: 1-line block ×4, first 2 shown]
	.long	77503099                        ; 0x49e9a7b
	.long	1928060945                      ; 0x72ebe011
	.long	851057115                       ; 0x32ba19db
	.long	349073007                       ; 0x14ce6e6f
	.long	1331102855                      ; 0x4f570487
	.long	4216140027                      ; 0xfb4d30fb
	;; [unrolled: 1-line block ×4, first 2 shown]
	.long	74466398                        ; 0x470445e
	.long	1140488004                      ; 0x43fa7744
	.long	1728766104                      ; 0x670ae098
	.long	917923571                       ; 0x36b666f3
	.long	3838112757                      ; 0xe4c4f3f5
	.long	2748402856                      ; 0xa3d14ca8
	;; [unrolled: 1-line block ×4, first 2 shown]
	.long	995791756                       ; 0x3b5a938c
	.long	1038286760                      ; 0x3de2ffa8
	.long	2013737074                      ; 0x78073072
	.long	163276737                       ; 0x9bb67c1
	.long	936142172                       ; 0x37cc655c
	.long	1944370085                      ; 0x73e4bba5
	.long	3518918891                      ; 0xd1be70eb
	;; [unrolled: 1-line block ×5, first 2 shown]
	.long	685261037                       ; 0x28d840ed
	.long	3555155951                      ; 0xd3e75fef
	.long	1052800761                      ; 0x3ec076f9
	;; [unrolled: 1-line block ×20, first 2 shown]
	.long	683364318                       ; 0x28bb4fde
	.long	1615533805                      ; 0x604b16ed
	.long	1438727397                      ; 0x55c13ce5
	;; [unrolled: 1-line block ×6, first 2 shown]
	.long	575044884                       ; 0x22467d14
	.long	2712063736                      ; 0xa1a6cef8
	.long	2406217399                      ; 0x8f6bf6b7
	.long	576119652                       ; 0x2256e364
	.long	2104489492                      ; 0x7d6ff614
	.long	2494528446                      ; 0x94af7bbe
	;; [unrolled: 1-line block ×4, first 2 shown]
	.long	786660788                       ; 0x2ee37db4
	.long	2438694106                      ; 0x915b84da
	.long	1443850072                      ; 0x560f6758
	;; [unrolled: 1-line block ×4, first 2 shown]
	.long	457955380                       ; 0x1b4bd834
	.long	380666771                       ; 0x16b08393
	.long	3062272732                      ; 0xb68692dc
	.long	2387056252                      ; 0x8e47967c
	.long	1354877973                      ; 0x50c1cc15
	.long	2256710588                      ; 0x8682abbc
	.long	3386636024                      ; 0xc9dbf6f8
	.long	1636806704                      ; 0x618fb030
	.long	517188972                       ; 0x1ed3ad6c
	.long	2275777233                      ; 0x87a59ad1
	.long	3733049985                      ; 0xde81d281
	.long	3278772216                      ; 0xc36e17f8
	.long	1562778171                      ; 0x5d261a3b
	.long	3436331606                      ; 0xccd24256
	.long	3438624166                      ; 0xccf53da6
	;; [unrolled: 7-line block ×3, first 2 shown]
	.long	4131469475                      ; 0xf64138a3
	.long	878455086                       ; 0x345c292e
	.long	2891870900                      ; 0xac5e72b4
	.long	2433363617                      ; 0x910a2ea1
	;; [unrolled: 1-line block ×9, first 2 shown]
	.long	719826541                       ; 0x2ae7ae6d
	.long	1405678725                      ; 0x53c8f485
	.long	1165821797                      ; 0x457d0765
	.long	817038005                       ; 0x30b302b5
	.long	3146256537                      ; 0xbb881099
	.long	3883590627                      ; 0xe77ae3e3
	.long	9522151                         ; 0x914be7
	.long	3239493343                      ; 0xc116bedf
	.long	4005124049                      ; 0xeeb957d1
	.long	1691076958                      ; 0x64cbc95e
	.long	893183073                       ; 0x353ce461
	.long	4076978821                      ; 0xf301c285
	.long	2088690204                      ; 0x7c7ee21c
	;; [unrolled: 1-line block ×18, first 2 shown]
	.long	715016637                       ; 0x2a9e49bd
	.long	1705234794                      ; 0x65a3d16a
	.long	1290704077                      ; 0x4cee94cd
	.long	2512565938                      ; 0x95c2b6b2
	.long	1021629824                      ; 0x3ce4d580
	.long	3395369301                      ; 0xca613955
	.long	2934074199                      ; 0xaee26b57
	.long	767420943                       ; 0x2dbdea0f
	.long	2287272047                      ; 0x8855006f
	.long	2253029302                      ; 0x864a7fb6
	.long	974431991                       ; 0x3a14a6f7
	.long	3060035390                      ; 0xb6646f3e
	.long	940587649                       ; 0x38103a81
	.long	3775715445                      ; 0xe10cd875
	.long	3732452739                      ; 0xde78b583
	.long	3708953729                      ; 0xdd122481
	.long	3489160434                      ; 0xcff85cf2
	.long	3200799223                      ; 0xbec851f7
	.long	340420813                       ; 0x144a68cd
	.long	2539294182                      ; 0x975a8de6
	.long	2619616318                      ; 0x9c242c3e
	.long	456806966                       ; 0x1b3a5236
	.long	4272538790                      ; 0xfea9c4a6
	.long	2994564124                      ; 0xb27d6c1c
	;; [unrolled: 1-line block ×8, first 2 shown]
	.long	273195440                       ; 0x1048a1b0
	.long	3579761455                      ; 0xd55ed32f
	.long	862317458                       ; 0x3365eb92
	.long	1894959361                      ; 0x70f2c901
	.long	42596779                        ; 0x289f9ab
	.long	376641729                       ; 0x167318c1
	.long	782820755                       ; 0x2ea8e593
	;; [unrolled: 1-line block ×4, first 2 shown]
	.long	4038035195                      ; 0xf0af86fb
	.long	311038326                       ; 0x128a1176
	.long	395780597                       ; 0x179721f5
	.long	2025474869                      ; 0x78ba4b35
	.long	404396572                       ; 0x181a9a1c
	.long	4138962756                      ; 0xf6b38f44
	.long	2441107014                      ; 0x91805646
	;; [unrolled: 1-line block ×3, first 2 shown]
	.long	947085768                       ; 0x387361c8
	.long	3758218091                      ; 0xe001db6b
	.long	3185789607                      ; 0xbde34aa7
	.long	638283508                       ; 0x260b6ef4
	.long	3802505926                      ; 0xe2a5a2c6
	.long	830259842                       ; 0x317cc282
	.long	1086400881                      ; 0x40c12971
	.long	3444485                         ; 0x348f05
	.long	142418107                       ; 0x87d20bb
	.long	4283468141                      ; 0xff50896d
	.long	1669846189                      ; 0x6387d4ad
	.long	955065888                       ; 0x38ed2620
	.long	3864384467                      ; 0xe655d3d3
	.long	73139517                        ; 0x45c053d
	.long	136809048                       ; 0x8278a58
	.long	1444329434                      ; 0x5616b7da
	.long	174974637                       ; 0xa6de6ad
	.long	3303183786                      ; 0xc4e295aa
	;; [unrolled: 2-line block ×3, first 2 shown]
	.long	3811060015                      ; 0xe328292f
	.long	1610640996                      ; 0x60006e64
	;; [unrolled: 1-line block ×5, first 2 shown]
	.long	39407702                        ; 0x2595056
	.long	2437666463                      ; 0x914bd69f
	.long	2454206642                      ; 0x924838b2
	.long	830758422                       ; 0x31845e16
	.long	4190092654                      ; 0xf9bfbd6e
	.long	1941090912                      ; 0x73b2b260
	.long	224373276                       ; 0xd5faa1c
	.long	3704201239                      ; 0xdcc9a017
	.long	3284012568                      ; 0xc3be0e18
	;; [unrolled: 1-line block ×17, first 2 shown]
	.long	991928712                       ; 0x3b1fa188
	.long	4064775043                      ; 0xf2478b83
	.long	4180493781                      ; 0xf92d45d5
	.long	2134685922                      ; 0x7f3cb8e2
	.long	642853690                       ; 0x26512b3a
	.long	290065503                       ; 0x114a0c5f
	.long	1629968                         ; 0x18df10
	.long	3150373868                      ; 0xbbc6e3ec
	.long	3110755428                      ; 0xb96a5c64
	.long	2254306163                      ; 0x865dfb73
	.long	421928533                       ; 0x19261e55
	.long	11426979                        ; 0xae5ca3
	.long	3042809169                      ; 0xb55d9551
	.long	786868170                       ; 0x2ee6a7ca
	.long	1287942583                      ; 0x4cc471b7
	.long	1851107769                      ; 0x6e55a9b9
	;; [unrolled: 1-line block ×6, first 2 shown]
	.long	505924220                       ; 0x1e27ca7c
	.long	2944131627                      ; 0xaf7be22b
	.long	2639930627                      ; 0x9d5a2503
	;; [unrolled: 1-line block ×8, first 2 shown]
	.long	997824216                       ; 0x3b7996d8
	.long	123465626                       ; 0x75bef9a
	;; [unrolled: 1-line block ×3, first 2 shown]
	.long	1161486362                      ; 0x453ae01a
	.long	2706162053                      ; 0xa14cc185
	;; [unrolled: 1-line block ×5, first 2 shown]
	.long	909648429                       ; 0x3638222d
	.long	298619078                       ; 0x11cc90c6
	.long	2057042454                      ; 0x7a9bfa16
	.long	3613272637                      ; 0xd75e2a3d
	;; [unrolled: 1-line block ×5, first 2 shown]
	.long	58508710                        ; 0x37cc5a6
	.long	1079418100                      ; 0x40569cf4
	.long	3278870121                      ; 0xc36f9669
	;; [unrolled: 1-line block ×3, first 2 shown]
	.long	16654909                        ; 0xfe223d
	.long	2530580589                      ; 0x96d5986d
	.long	3361874982                      ; 0xc8622426
	.long	629910009                       ; 0x258ba9f9
	.long	2124761646                      ; 0x7ea54a2e
	.long	2508133604                      ; 0x957f14e4
	;; [unrolled: 1-line block ×4, first 2 shown]
	.long	141617625                       ; 0x870e9d9
	.long	1653192078                      ; 0x6289b58e
	.long	1541695589                      ; 0x5be46865
	;; [unrolled: 1-line block ×11, first 2 shown]
	.long	176823785                       ; 0xa8a1de9
	.long	913229929                       ; 0x366ec869
	;; [unrolled: 1-line block ×3, first 2 shown]
	.long	2256486297                      ; 0x867f3f99
	.long	2881672598                      ; 0xabc2d596
	.long	597153273                       ; 0x2397d5f9
	.long	2782767695                      ; 0xa5ddaa4f
	.long	1133158067                      ; 0x438a9eb3
	;; [unrolled: 1-line block ×4, first 2 shown]
	.long	754062201                       ; 0x2cf21379
	.long	4069172986                      ; 0xf28aa6fa
	.long	2441935114                      ; 0x918cf90a
	;; [unrolled: 1-line block ×6, first 2 shown]
	.long	495424232                       ; 0x1d8792e8
	.long	2490548037                      ; 0x9472bf45
	.long	581670528                       ; 0x22ab9680
	.long	2467171733                      ; 0x930e0d95
	.long	2200094863                      ; 0x8322c88f
	;; [unrolled: 1-line block ×9, first 2 shown]
	.long	349440478                       ; 0x14d409de
	.long	3920932491                      ; 0xe9b4ae8b
	.long	2462464051                      ; 0x92c63833
	.long	1075951496                      ; 0x4021b788
	.long	2835763703                      ; 0xa90651f7
	.long	1593198055                      ; 0x5ef645e7
	.long	2380945625                      ; 0x8dea58d9
	.long	543531323                       ; 0x2065a13b
	.long	3182766507                      ; 0xbdb529ab
	.long	2927484354                      ; 0xae7dddc2
	.long	2877470578                      ; 0xab82b772
	.long	4153923603                      ; 0xf797d813
	.long	2443156156                      ; 0x919f9abc
	.long	1168544900                      ; 0x45a69484
	;; [unrolled: 7-line block ×3, first 2 shown]
	.long	1095584023                      ; 0x414d4917
	.long	1370834065                      ; 0x51b54491
	;; [unrolled: 1-line block ×3, first 2 shown]
	.long	312378113                       ; 0x129e8301
	.long	3190819203                      ; 0xbe300983
	.long	1247574926                      ; 0x4a5c7b8e
	;; [unrolled: 1-line block ×5, first 2 shown]
	.long	847820646                       ; 0x3288b766
	.long	3992973956                      ; 0xedfff284
	.long	3827223401                      ; 0xe41ecb69
	;; [unrolled: 1-line block ×4, first 2 shown]
	.long	295000614                       ; 0x11955a26
	.long	2238923504                      ; 0x857342f0
	.long	3485717254                      ; 0xcfc3d306
	.long	290246351                       ; 0x114ccecf
	.long	1064210816                      ; 0x3f6e9180
	.long	2848539559                      ; 0xa9c943a7
	;; [unrolled: 1-line block ×3, first 2 shown]
	.long	422213010                       ; 0x192a7592
	.long	2796674561                      ; 0xa6b1de01
	.long	3568250500                      ; 0xd4af2e84
	;; [unrolled: 1-line block ×9, first 2 shown]
	.long	905168850                       ; 0x35f3c7d2
	.long	3916344126                      ; 0xe96eab3e
	.long	1496013046                      ; 0x592b58f6
	.long	206343742                       ; 0xc4c8e3e
	.long	2894205125                      ; 0xac8210c5
	.long	1082918859                      ; 0x408c07cb
	;; [unrolled: 1-line block ×8, first 2 shown]
	.long	446879604                       ; 0x1aa2d774
	.long	587022214                       ; 0x22fd3f86
	.long	1614371566                      ; 0x60395aee
	.long	3040899994                      ; 0xb540739a
	;; [unrolled: 1-line block ×3, first 2 shown]
	.long	937325128                       ; 0x37de7248
	.long	1968833679                      ; 0x755a048f
	.long	169086151                       ; 0xa140cc7
	.long	4075432555                      ; 0xf2ea2a6b
	.long	1196046411                      ; 0x474a384b
	;; [unrolled: 1-line block ×9, first 2 shown]
	.long	694590905                       ; 0x29669db9
	.long	1828365460                      ; 0x6cfaa494
	.long	513716230                       ; 0x1e9eb006
	.long	3106485486                      ; 0xb92934ee
	.long	2441593994                      ; 0x9187c48a
	;; [unrolled: 1-line block ×5, first 2 shown]
	.long	179764922                       ; 0xab6feba
	.long	579361186                       ; 0x228859a2
	.long	3474393871                      ; 0xcf170b0f
	.long	2474241006                      ; 0x9379ebee
	;; [unrolled: 1-line block ×12, first 2 shown]
	.long	334893087                       ; 0x13f6101f
	.long	1892049031                      ; 0x70c66087
	.long	2603159239                      ; 0x9b290ec7
	;; [unrolled: 1-line block ×6, first 2 shown]
	.long	725740783                       ; 0x2b41ecef
	.long	3728108967                      ; 0xde366da7
	.long	573931936                       ; 0x223581a0
	.long	137996587                       ; 0x839a92b
	;; [unrolled: 1-line block ×3, first 2 shown]
	.long	3984787930                      ; 0xed8309da
	.long	3773232816                      ; 0xe0e6f6b0
	;; [unrolled: 1-line block ×5, first 2 shown]
	.long	195827466                       ; 0xbac170a
	.long	1409073281                      ; 0x53fcc081
	.long	867635355                       ; 0x33b7109b
	.long	3049533211                      ; 0xb5c42f1b
	.long	486687054                       ; 0x1d02414e
	.long	2570137956                      ; 0x99313164
	.long	527522011                       ; 0x1f7158db
	.long	1084454084                      ; 0x40a374c4
	.long	1019222771                      ; 0x3cc01af3
	.long	1415565066                      ; 0x545fcf0a
	.long	650794786                       ; 0x26ca5722
	.long	629618803                       ; 0x25873873
	.long	1237709131                      ; 0x49c5f14b
	.long	1241899078                      ; 0x4a05e046
	;; [unrolled: 1-line block ×4, first 2 shown]
	.long	649402117                       ; 0x26b51705
	.long	275078659                       ; 0x10655e03
	;; [unrolled: 1-line block ×3, first 2 shown]
	.long	2173220853                      ; 0x8188b7f5
	.long	3207031798                      ; 0xbf276bf6
	.long	821073585                       ; 0x30f096b1
	.long	3005400729                      ; 0xb322c699
	.long	1085152012                      ; 0x40ae1b0c
	;; [unrolled: 1-line block ×7, first 2 shown]
	.long	495424232                       ; 0x1d8792e8
	.long	2490548037                      ; 0x9472bf45
	.long	581670528                       ; 0x22ab9680
	.long	2467171733                      ; 0x930e0d95
	.long	1208279791                      ; 0x4804e2ef
	;; [unrolled: 1-line block ×9, first 2 shown]
	.long	349440478                       ; 0x14d409de
	.long	3920932491                      ; 0xe9b4ae8b
	.long	657289255                       ; 0x272d7027
	.long	1075951496                      ; 0x4021b788
	.long	2835763703                      ; 0xa90651f7
	;; [unrolled: 1-line block ×4, first 2 shown]
	.long	149487931                       ; 0x8e9013b
	.long	3182766507                      ; 0xbdb529ab
	.long	2927484354                      ; 0xae7dddc2
	;; [unrolled: 1-line block ×4, first 2 shown]
	.long	606130344                       ; 0x2420d0a8
	.long	1168544900                      ; 0x45a69484
	.long	888955615                       ; 0x34fc62df
	.long	3605412824                      ; 0xd6e63bd8
	.long	1336677864                      ; 0x4fac15e8
	.long	53448770                        ; 0x32f9042
	.long	2884036014                      ; 0xabe6e5ae
	.long	4070749843                      ; 0xf2a2b693
	;; [unrolled: 1-line block ×6, first 2 shown]
	.long	312378113                       ; 0x129e8301
	.long	3190819203                      ; 0xbe300983
	.long	1247574926                      ; 0x4a5c7b8e
	;; [unrolled: 1-line block ×5, first 2 shown]
	.long	847820646                       ; 0x3288b766
	.long	3992973956                      ; 0xedfff284
	.long	154171325                       ; 0x93077bd
	.long	4113429617                      ; 0xf52df471
	.long	3504933502                      ; 0xd0e90a7e
	.long	295000614                       ; 0x11955a26
	.long	2238923504                      ; 0x857342f0
	.long	282708664                       ; 0x10d9cab8
	.long	290246351                       ; 0x114ccecf
	.long	1064210816                      ; 0x3f6e9180
	.long	2848539559                      ; 0xa9c943a7
	.long	2617134888                      ; 0x9bfe4f28
	.long	36906646                        ; 0x2332696
	.long	2796674561                      ; 0xa6b1de01
	.long	3568250500                      ; 0xd4af2e84
	;; [unrolled: 1-line block ×9, first 2 shown]
	.long	448215287                       ; 0x1ab738f7
	.long	3916344126                      ; 0xe96eab3e
	.long	1496013046                      ; 0x592b58f6
	.long	206343742                       ; 0xc4c8e3e
	.long	2894205125                      ; 0xac8210c5
	.long	2420861244                      ; 0x904b693c
	;; [unrolled: 1-line block ×8, first 2 shown]
	.long	446879604                       ; 0x1aa2d774
	.long	587022214                       ; 0x22fd3f86
	.long	1614371566                      ; 0x60395aee
	.long	958587333                       ; 0x3922e1c5
	.long	3686422145                      ; 0xdbba5681
	;; [unrolled: 2-line block ×3, first 2 shown]
	.long	169086151                       ; 0xa140cc7
	.long	154576725                       ; 0x936a755
	.long	1196046411                      ; 0x474a384b
	.long	3101745581                      ; 0xb8e0e1ad
	;; [unrolled: 1-line block ×8, first 2 shown]
	.long	694590905                       ; 0x29669db9
	.long	3754606623                      ; 0xdfcac01f
	.long	513716230                       ; 0x1e9eb006
	.long	3106485486                      ; 0xb92934ee
	.long	2441593994                      ; 0x9187c48a
	;; [unrolled: 1-line block ×5, first 2 shown]
	.long	179764922                       ; 0xab6feba
	.long	579361186                       ; 0x228859a2
	.long	3474393871                      ; 0xcf170b0f
	.long	2138270428                      ; 0x7f736adc
	;; [unrolled: 1-line block ×12, first 2 shown]
	.long	334893087                       ; 0x13f6101f
	.long	1892049031                      ; 0x70c66087
	.long	2603159239                      ; 0x9b290ec7
	;; [unrolled: 1-line block ×6, first 2 shown]
	.long	725740783                       ; 0x2b41ecef
	.long	3728108967                      ; 0xde366da7
	.long	436976908                       ; 0x1a0bbd0c
	.long	137996587                       ; 0x839a92b
	.long	110756053                       ; 0x69a00d5
	.long	3984787930                      ; 0xed8309da
	.long	3773232816                      ; 0xe0e6f6b0
	;; [unrolled: 1-line block ×5, first 2 shown]
	.long	195827466                       ; 0xbac170a
	.long	1409073281                      ; 0x53fcc081
	.long	3036813614                      ; 0xb502192e
	;; [unrolled: 1-line block ×3, first 2 shown]
	.long	486687054                       ; 0x1d02414e
	.long	2570137956                      ; 0x99313164
	.long	527522011                       ; 0x1f7158db
	.long	3669951690                      ; 0xdabf04ca
	.long	1019222771                      ; 0x3cc01af3
	;; [unrolled: 1-line block ×3, first 2 shown]
	.long	650794786                       ; 0x26ca5722
	.long	629618803                       ; 0x25873873
	.long	4140569538                      ; 0xf6cc13c2
	.long	1241899078                      ; 0x4a05e046
	;; [unrolled: 1-line block ×4, first 2 shown]
	.long	649402117                       ; 0x26b51705
	.long	2946582304                      ; 0xafa14720
	.long	752459111                       ; 0x2cd99d67
	.long	2173220853                      ; 0x8188b7f5
	.long	3207031798                      ; 0xbf276bf6
	.long	821073585                       ; 0x30f096b1
	.long	1738142977                      ; 0x6799f501
	.long	1085152012                      ; 0x40ae1b0c
	;; [unrolled: 1-line block ×7, first 2 shown]
	.long	495424232                       ; 0x1d8792e8
	.long	2490548037                      ; 0x9472bf45
	.long	581670528                       ; 0x22ab9680
	.long	2365865647                      ; 0x8d043eaf
	.long	1208279791                      ; 0x4804e2ef
	;; [unrolled: 1-line block ×9, first 2 shown]
	.long	349440478                       ; 0x14d409de
	.long	3706519197                      ; 0xdcecfe9d
	.long	657289255                       ; 0x272d7027
	.long	1075951496                      ; 0x4021b788
	.long	2835763703                      ; 0xa90651f7
	;; [unrolled: 1-line block ×4, first 2 shown]
	.long	149487931                       ; 0x8e9013b
	.long	3182766507                      ; 0xbdb529ab
	.long	2927484354                      ; 0xae7dddc2
	;; [unrolled: 1-line block ×4, first 2 shown]
	.long	606130344                       ; 0x2420d0a8
	.long	1168544900                      ; 0x45a69484
	.long	888955615                       ; 0x34fc62df
	.long	3605412824                      ; 0xd6e63bd8
	.long	1503975597                      ; 0x59a4d8ad
	.long	53448770                        ; 0x32f9042
	.long	2884036014                      ; 0xabe6e5ae
	.long	4070749843                      ; 0xf2a2b693
	;; [unrolled: 1-line block ×3, first 2 shown]
	.long	243605110                       ; 0xe851e76
	.long	2766144383                      ; 0xa4e0037f
	.long	3534389580                      ; 0xd2aa814c
	.long	312378113                       ; 0x129e8301
	.long	3190819203                      ; 0xbe300983
	.long	2398088088                      ; 0x8eefeb98
	;; [unrolled: 1-line block ×5, first 2 shown]
	.long	847820646                       ; 0x3288b766
	.long	2940281320                      ; 0xaf4121e8
	.long	154171325                       ; 0x93077bd
	.long	4113429617                      ; 0xf52df471
	.long	3504933502                      ; 0xd0e90a7e
	.long	295000614                       ; 0x11955a26
	.long	3078701806                      ; 0xb78142ee
	.long	282708664                       ; 0x10d9cab8
	.long	290246351                       ; 0x114ccecf
	.long	1064210816                      ; 0x3f6e9180
	.long	2848539559                      ; 0xa9c943a7
	;; [unrolled: 1-line block ×3, first 2 shown]
	.long	36906646                        ; 0x2332696
	.long	2796674561                      ; 0xa6b1de01
	.long	3568250500                      ; 0xd4af2e84
	;; [unrolled: 1-line block ×9, first 2 shown]
	.long	448215287                       ; 0x1ab738f7
	.long	3916344126                      ; 0xe96eab3e
	.long	1496013046                      ; 0x592b58f6
	.long	206343742                       ; 0xc4c8e3e
	.long	3419083433                      ; 0xcbcb12a9
	.long	2420861244                      ; 0x904b693c
	;; [unrolled: 1-line block ×8, first 2 shown]
	.long	446879604                       ; 0x1aa2d774
	.long	587022214                       ; 0x22fd3f86
	;; [unrolled: 1-line block ×4, first 2 shown]
	.long	3686422145                      ; 0xdbba5681
	.long	937325128                       ; 0x37de7248
	.long	1968833679                      ; 0x755a048f
	.long	1808935939                      ; 0x6bd22c03
	.long	154576725                       ; 0x936a755
	.long	1196046411                      ; 0x474a384b
	.long	3101745581                      ; 0xb8e0e1ad
	;; [unrolled: 1-line block ×3, first 2 shown]
	.long	709576348                       ; 0x2a4b469c
	.long	2487464668                      ; 0x9443b2dc
	.long	1673491641                      ; 0x63bf74b9
	;; [unrolled: 1-line block ×6, first 2 shown]
	.long	513716230                       ; 0x1e9eb006
	.long	3106485486                      ; 0xb92934ee
	.long	2441593994                      ; 0x9187c48a
	;; [unrolled: 1-line block ×5, first 2 shown]
	.long	179764922                       ; 0xab6feba
	.long	579361186                       ; 0x228859a2
	.long	1454621561                      ; 0x56b3c379
	.long	2138270428                      ; 0x7f736adc
	.long	4031850878                      ; 0xf051297e
	.long	3120409532                      ; 0xb9fdabbc
	.long	4011587898                      ; 0xef1bf93a
	.long	898119245                       ; 0x3588364d
	.long	4015980199                      ; 0xef5efea7
	.long	3097029759                      ; 0xb898ec7f
	.long	2652540191                      ; 0x9e1a8d1f
	.long	1128762588                      ; 0x43478cdc
	.long	1131456853                      ; 0x4370a955
	.long	3908621649                      ; 0xe8f8d551
	.long	334893087                       ; 0x13f6101f
	.long	1892049031                      ; 0x70c66087
	;; [unrolled: 7-line block ×3, first 2 shown]
	.long	436976908                       ; 0x1a0bbd0c
	.long	137996587                       ; 0x839a92b
	;; [unrolled: 1-line block ×3, first 2 shown]
	.long	3984787930                      ; 0xed8309da
	.long	1295994548                      ; 0x4d3f4eb4
	;; [unrolled: 1-line block ×5, first 2 shown]
	.long	195827466                       ; 0xbac170a
	.long	252558267                       ; 0xf0dbbbb
	.long	3036813614                      ; 0xb502192e
	.long	3049533211                      ; 0xb5c42f1b
	.long	486687054                       ; 0x1d02414e
	.long	2570137956                      ; 0x99313164
	.long	786434419                       ; 0x2ee00973
	.long	3669951690                      ; 0xdabf04ca
	.long	1019222771                      ; 0x3cc01af3
	;; [unrolled: 1-line block ×3, first 2 shown]
	.long	650794786                       ; 0x26ca5722
	.long	1316734597                      ; 0x4e7bc685
	.long	4140569538                      ; 0xf6cc13c2
	;; [unrolled: 1-line block ×7, first 2 shown]
	.long	752459111                       ; 0x2cd99d67
	.long	2173220853                      ; 0x8188b7f5
	.long	3207031798                      ; 0xbf276bf6
	;; [unrolled: 1-line block ×10, first 2 shown]
	.long	495424232                       ; 0x1d8792e8
	.long	2490548037                      ; 0x9472bf45
	.long	240094068                       ; 0xe4f8b74
	.long	2365865647                      ; 0x8d043eaf
	.long	1208279791                      ; 0x4804e2ef
	;; [unrolled: 1-line block ×9, first 2 shown]
	.long	681942656                       ; 0x28a59e80
	.long	3706519197                      ; 0xdcecfe9d
	.long	657289255                       ; 0x272d7027
	.long	1075951496                      ; 0x4021b788
	.long	2835763703                      ; 0xa90651f7
	;; [unrolled: 1-line block ×4, first 2 shown]
	.long	149487931                       ; 0x8e9013b
	.long	3182766507                      ; 0xbdb529ab
	.long	2927484354                      ; 0xae7dddc2
	;; [unrolled: 1-line block ×4, first 2 shown]
	.long	606130344                       ; 0x2420d0a8
	.long	1168544900                      ; 0x45a69484
	.long	888955615                       ; 0x34fc62df
	.long	757163746                       ; 0x2d2166e2
	.long	1503975597                      ; 0x59a4d8ad
	.long	53448770                        ; 0x32f9042
	.long	2884036014                      ; 0xabe6e5ae
	.long	4070749843                      ; 0xf2a2b693
	;; [unrolled: 1-line block ×3, first 2 shown]
	.long	243605110                       ; 0xe851e76
	.long	2766144383                      ; 0xa4e0037f
	.long	3534389580                      ; 0xd2aa814c
	.long	312378113                       ; 0x129e8301
	.long	2256467250                      ; 0x867ef532
	.long	2398088088                      ; 0x8eefeb98
	;; [unrolled: 1-line block ×7, first 2 shown]
	.long	154171325                       ; 0x93077bd
	.long	4113429617                      ; 0xf52df471
	.long	3504933502                      ; 0xd0e90a7e
	.long	714934244                       ; 0x2a9d07e4
	.long	3078701806                      ; 0xb78142ee
	.long	282708664                       ; 0x10d9cab8
	.long	290246351                       ; 0x114ccecf
	.long	1064210816                      ; 0x3f6e9180
	.long	3694453051                      ; 0xdc34e13b
	.long	3960345380                      ; 0xec0e1324
	.long	36906646                        ; 0x2332696
	.long	2796674561                      ; 0xa6b1de01
	.long	3568250500                      ; 0xd4af2e84
	;; [unrolled: 1-line block ×9, first 2 shown]
	.long	448215287                       ; 0x1ab738f7
	.long	3916344126                      ; 0xe96eab3e
	.long	1496013046                      ; 0x592b58f6
	;; [unrolled: 1-line block ×11, first 2 shown]
	.long	446879604                       ; 0x1aa2d774
	.long	3719452721                      ; 0xddb25831
	.long	506352928                       ; 0x1e2e5520
	.long	958587333                       ; 0x3922e1c5
	.long	3686422145                      ; 0xdbba5681
	.long	937325128                       ; 0x37de7248
	.long	2653904510                      ; 0x9e2f5e7e
	.long	1808935939                      ; 0x6bd22c03
	.long	154576725                       ; 0x936a755
	.long	1196046411                      ; 0x474a384b
	.long	3101745581                      ; 0xb8e0e1ad
	.long	425411544                       ; 0x195b43d8
	.long	709576348                       ; 0x2a4b469c
	.long	2487464668                      ; 0x9443b2dc
	.long	1673491641                      ; 0x63bf74b9
	;; [unrolled: 1-line block ×6, first 2 shown]
	.long	513716230                       ; 0x1e9eb006
	.long	3106485486                      ; 0xb92934ee
	.long	2881551071                      ; 0xabc0fadf
	.long	1453443785                      ; 0x56a1cac9
	.long	3064108377                      ; 0xb6a29559
	.long	3957990629                      ; 0xebea24e5
	.long	179764922                       ; 0xab6feba
	.long	1408218536                      ; 0x53efb5a8
	.long	1454621561                      ; 0x56b3c379
	.long	2138270428                      ; 0x7f736adc
	.long	4031850878                      ; 0xf051297e
	.long	3120409532                      ; 0xb9fdabbc
	.long	3700386494                      ; 0xdc8f6abe
	.long	898119245                       ; 0x3588364d
	.long	4015980199                      ; 0xef5efea7
	;; [unrolled: 7-line block ×3, first 2 shown]
	.long	4220220071                      ; 0xfb8b72a7
	.long	4280222837                      ; 0xff1f0475
	;; [unrolled: 1-line block ×7, first 2 shown]
	.long	436976908                       ; 0x1a0bbd0c
	.long	137996587                       ; 0x839a92b
	;; [unrolled: 1-line block ×3, first 2 shown]
	.long	1360813614                      ; 0x511c5e2e
	.long	1295994548                      ; 0x4d3f4eb4
	;; [unrolled: 1-line block ×6, first 2 shown]
	.long	252558267                       ; 0xf0dbbbb
	.long	3036813614                      ; 0xb502192e
	.long	3049533211                      ; 0xb5c42f1b
	.long	486687054                       ; 0x1d02414e
	.long	387915679                       ; 0x171f1f9f
	;; [unrolled: 1-line block ×3, first 2 shown]
	.long	3669951690                      ; 0xdabf04ca
	.long	1019222771                      ; 0x3cc01af3
	.long	1415565066                      ; 0x545fcf0a
	.long	4267042909                      ; 0xfe55e85d
	.long	1316734597                      ; 0x4e7bc685
	.long	4140569538                      ; 0xf6cc13c2
	.long	1241899078                      ; 0x4a05e046
	.long	2751644247                      ; 0xa402c257
	.long	3622120385                      ; 0xd7e52bc1
	.long	4014748337                      ; 0xef4c32b1
	.long	2946582304                      ; 0xafa14720
	.long	752459111                       ; 0x2cd99d67
	.long	2173220853                      ; 0x8188b7f5
	.long	1128460687                      ; 0x4342f18f
	.long	2268047031                      ; 0x872fa6b7
	.long	239933818                       ; 0xe4d197a
	.long	4141570430                      ; 0xf6db597e
	.long	1318816940                      ; 0x4e9b8cac
	.long	2378987660                      ; 0x8dcc788c
	;; [unrolled: 4-line block ×3, first 2 shown]
	.long	431933385                       ; 0x19bec7c9
	.long	154404673                       ; 0x9340741
	.long	2020658234                      ; 0x7870cc3a
	.long	846815781                       ; 0x32796225
	.long	822137193                       ; 0x3100d169
	.long	1057315444                      ; 0x3f055a74
	.long	3632584082                      ; 0xd884d592
	;; [unrolled: 1-line block ×3, first 2 shown]
	.long	942201956                       ; 0x3828dc64
	.long	2704683551                      ; 0xa136321f
	.long	1768107067                      ; 0x69632c3b
	;; [unrolled: 1-line block ×4, first 2 shown]
	.long	701246680                       ; 0x29cc2cd8
	.long	3548419575                      ; 0xd38095f7
	.long	3873366129                      ; 0xe6dee071
	;; [unrolled: 1-line block ×4, first 2 shown]
	.long	66597794                        ; 0x3f833a2
	.long	2515774132                      ; 0x95f3aab4
	.long	516246524                       ; 0x1ec54bfc
	.long	4232115668                      ; 0xfc40f5d4
	.long	34426096                        ; 0x20d4cf0
	.long	2206423458                      ; 0x838359a2
	.long	3628832867                      ; 0xd84b9863
	.long	2776950121                      ; 0xa584e569
	.long	2782943544                      ; 0xa5e05938
	.long	2058958317                      ; 0x7ab935ed
	.long	1805852726                      ; 0x6ba32036
	.long	2151415233                      ; 0x803bfdc1
	.long	2940074103                      ; 0xaf3df877
	.long	2318397273                      ; 0x8a2fef59
	.long	3067676663                      ; 0xb6d907f7
	.long	3127709351                      ; 0xba6d0ea7
	.long	71509976                        ; 0x44327d8
	.long	115529187                       ; 0x6e2d5e3
	.long	1841252918                      ; 0x6dbf4a36
	.long	2217805156                      ; 0x84310564
	.long	733917373                       ; 0x2bbeb0bd
	.long	2432474677                      ; 0x90fc9e35
	.long	1416887641                      ; 0x5473fd59
	;; [unrolled: 1-line block ×4, first 2 shown]
	.long	510547269                       ; 0x1e6e5545
	.long	2614743018                      ; 0x9bd9cfea
	.long	759552691                       ; 0x2d45dab3
	.long	2264773752                      ; 0x86fdb478
	;; [unrolled: 2-line block ×3, first 2 shown]
	.long	1681067734                      ; 0x64330ed6
	.long	1085957001                      ; 0x40ba6389
	.long	846460632                       ; 0x3273f6d8
	.long	2824079919                      ; 0xa8540a2f
	.long	1820633139                      ; 0x6c84a833
	;; [unrolled: 1-line block ×14, first 2 shown]
	.long	592016143                       ; 0x2349730f
	.long	1116895096                      ; 0x42927778
	.long	889321536                       ; 0x3501f840
	.long	375621825                       ; 0x166388c1
	.long	2935845994                      ; 0xaefd746a
	.long	1982459859                      ; 0x7629efd3
	;; [unrolled: 1-line block ×3, first 2 shown]
	.long	294519309                       ; 0x118e020d
	.long	2661638345                      ; 0x9ea560c9
	.long	1089335942                      ; 0x40edf286
	.long	227150969                       ; 0xd8a0c79
	.long	1454919198                      ; 0x56b84e1e
	.long	3780503305                      ; 0xe155e709
	;; [unrolled: 1-line block ×4, first 2 shown]
	.long	766546986                       ; 0x2db0942a
	.long	3638407467                      ; 0xd8ddb12b
	.long	925906735                       ; 0x3730372f
	.long	208891816                       ; 0xc736fa8
	;; [unrolled: 1-line block ×3, first 2 shown]
	.long	2853181150                      ; 0xaa1016de
	.long	3889751556                      ; 0xe7d8e604
	;; [unrolled: 1-line block ×3, first 2 shown]
	.long	853579433                       ; 0x32e096a9
	.long	2131555681                      ; 0x7f0cf561
	.long	1396396345                      ; 0x533b5139
	;; [unrolled: 1-line block ×3, first 2 shown]
	.long	978252562                       ; 0x3a4ef312
	.long	2134024308                      ; 0x7f32a074
	.long	2429920974                      ; 0x90d5a6ce
	;; [unrolled: 1-line block ×5, first 2 shown]
	.long	916521377                       ; 0x36a101a1
	.long	3950270431                      ; 0xeb7457df
	.long	2663319810                      ; 0x9ebf0902
	;; [unrolled: 1-line block ×20, first 2 shown]
	.long	639953781                       ; 0x2624eb75
	.long	785902378                       ; 0x2ed7eb2a
	.long	3852544833                      ; 0xe5a12b41
	.long	553508260                       ; 0x20fddda4
	.long	23014564                        ; 0x15f2ca4
	.long	106722100                       ; 0x65c7334
	.long	2705412979                      ; 0xa1415373
	.long	3449440367                      ; 0xcd9a486f
	.long	950636401                       ; 0x38a98f71
	.long	870804158                       ; 0x33e76abe
	;; [unrolled: 1-line block ×5, first 2 shown]
	.long	2739378330                      ; 0xa347989a
	.long	377730945                       ; 0x1683b781
	.long	418426029                       ; 0x18f0acad
	;; [unrolled: 1-line block ×4, first 2 shown]
	.long	4222664331                      ; 0xfbb0be8b
	.long	3346048120                      ; 0xc770a478
	;; [unrolled: 1-line block ×5, first 2 shown]
	.long	698046507                       ; 0x299b582b
	.long	1671346285                      ; 0x639eb86d
	.long	4127293033                      ; 0xf6017e69
	.long	568612264                       ; 0x21e455a8
	.long	3467142937                      ; 0xcea86719
	.long	1627988025                      ; 0x61092039
	;; [unrolled: 1-line block ×4, first 2 shown]
	.long	215030128                       ; 0xcd11970
	.long	871645668                       ; 0x33f441e4
	.long	3402612852                      ; 0xcacfc074
	.long	423273439                       ; 0x193aa3df
	.long	316965236                       ; 0x12e48174
	.long	47416561                        ; 0x2d384f1
	.long	1470716454                      ; 0x57a95a26
	.long	2288582385                      ; 0x8868fef1
	;; [unrolled: 1-line block ×4, first 2 shown]
	.long	167227868                       ; 0x9f7b1dc
	.long	3085506034                      ; 0xb7e915f2
	.long	3365950545                      ; 0xc8a05451
	;; [unrolled: 1-line block ×4, first 2 shown]
	.long	197195155                       ; 0xbc0f593
	.long	2644113318                      ; 0x9d99f7a6
	.long	2491271090                      ; 0x947dc7b2
	;; [unrolled: 1-line block ×3, first 2 shown]
	.long	170335901                       ; 0xa271e9d
	.long	2540851884                      ; 0x977252ac
	.long	2584420407                      ; 0x9a0b2037
	;; [unrolled: 1-line block ×7, first 2 shown]
	.long	110647395                       ; 0x6985863
	.long	3262987676                      ; 0xc27d3d9c
	.long	1447103309                      ; 0x56410b4d
	;; [unrolled: 1-line block ×6, first 2 shown]
	.long	38676169                        ; 0x24e26c9
	.long	2431628817                      ; 0x90efb611
	.long	2836918800                      ; 0xa917f210
	.long	272023527                       ; 0x1036bfe7
	.long	2825888902                      ; 0xa86fa486
	.long	2794421955                      ; 0xa68f7ec3
	;; [unrolled: 1-line block ×3, first 2 shown]
	.long	452404203                       ; 0x1af723eb
	.long	584718212                       ; 0x22da1784
	.long	1915053836                      ; 0x7225670c
	.long	1455821656                      ; 0x56c61358
	;; [unrolled: 1-line block ×6, first 2 shown]
	.long	441521402                       ; 0x1a5114fa
	.long	3807587668                      ; 0xe2f32d54
	.long	275969953                       ; 0x1072f7a1
	.long	3970844623                      ; 0xecae47cf
	.long	3323695518                      ; 0xc61b919e
	;; [unrolled: 1-line block ×3, first 2 shown]
	.long	290225599                       ; 0x114c7dbf
	.long	957520066                       ; 0x391298c2
	.long	4048181850                      ; 0xf14a5a5a
	.long	2623778463                      ; 0x9c63ae9f
	;; [unrolled: 1-line block ×3, first 2 shown]
	.long	540091753                       ; 0x20312569
	.long	3072448879                      ; 0xb721d96f
	.long	2386916346                      ; 0x8e4573fa
	.long	392549194                       ; 0x1765d34a
	.long	1261391184                      ; 0x4b2f4d50
	.long	4137605148                      ; 0xf69ed81c
	;; [unrolled: 3-line block ×3, first 2 shown]
	.long	2332027308                      ; 0x8affe9ac
	.long	1967082817                      ; 0x753f4d41
	;; [unrolled: 1-line block ×8, first 2 shown]
	.long	59190648                        ; 0x3872d78
	.long	1657183299                      ; 0x62c69c43
	.long	1314626253                      ; 0x4e5b9acd
	.long	500606287                       ; 0x1dd6a54f
	.long	413229420                       ; 0x18a1616c
	.long	1245395908                      ; 0x4a3b3bc4
	.long	664681                          ; 0xa2469
	.long	2726979120                      ; 0xa28a6630
	.long	3408998445                      ; 0xcb31302d
	;; [unrolled: 1-line block ×7, first 2 shown]
	.long	229857331                       ; 0xdb35833
	.long	3086071450                      ; 0xb7f1b69a
	.long	1327801028                      ; 0x4f24a2c4
	.long	812015573                       ; 0x30665fd5
	.long	2214355282                      ; 0x83fc6152
	.long	2232635690                      ; 0x8513512a
	;; [unrolled: 1-line block ×4, first 2 shown]
	.long	470752564                       ; 0x1c0f1d34
	.long	2527480795                      ; 0x96a64bdb
	.long	1285499716                      ; 0x4c9f2b44
	.long	220173566                       ; 0xd1f94fe
	.long	4239277569                      ; 0xfcae3e01
	.long	788168494                       ; 0x2efa7f2e
	.long	3748855859                      ; 0xdf730033
	.long	1360707769                      ; 0x511ac0b9
	.long	449512212                       ; 0x1acb0314
	.long	1238219398                      ; 0x49cdba86
	.long	2880205975                      ; 0xabac7497
	;; [unrolled: 1-line block ×3, first 2 shown]
	.long	372409230                       ; 0x1632838e
	.long	411800575                       ; 0x188b93ff
	.long	2455333195                      ; 0x9259694b
	.long	4080817864                      ; 0xf33c56c8
	;; [unrolled: 1-line block ×9, first 2 shown]
	.long	4214448                         ; 0x404eb0
	.long	460332681                       ; 0x1b701e89
	.long	30890894                        ; 0x1d75b8e
	.long	1108618048                      ; 0x42142b40
	.long	272438799                       ; 0x103d160f
	.long	3339891045                      ; 0xc712b165
	.long	1512685591                      ; 0x5a29c017
	;; [unrolled: 1-line block ×7, first 2 shown]
	.long	861206186                       ; 0x3354f6aa
	.long	290322827                       ; 0x114df98b
	.long	2736623609                      ; 0xa31d8ff9
	.long	327318125                       ; 0x13827a6d
	.long	1922859957                      ; 0x729c83b5
	.long	1939922519                      ; 0x73a0de57
	;; [unrolled: 1-line block ×6, first 2 shown]
	.long	47774461                        ; 0x2d8fafd
	.long	3858864626                      ; 0xe60199f2
	.long	3294523981                      ; 0xc45e724d
	;; [unrolled: 1-line block ×3, first 2 shown]
	.long	565017248                       ; 0x21ad7aa0
	.long	2633378137                      ; 0x9cf62959
	.long	811307482                       ; 0x305b91da
	.long	1743357106                      ; 0x67e984b2
	;; [unrolled: 2-line block ×3, first 2 shown]
	.long	1799884674                      ; 0x6b480f82
	.long	1720546272                      ; 0x668d73e0
	;; [unrolled: 1-line block ×5, first 2 shown]
	.long	576775454                       ; 0x2260e51e
	.long	2246605826                      ; 0x85e87c02
	.long	215030128                       ; 0xcd11970
	.long	871645668                       ; 0x33f441e4
	.long	3402612852                      ; 0xcacfc074
	.long	619000856                       ; 0x24e53418
	.long	316965236                       ; 0x12e48174
	.long	47416561                        ; 0x2d384f1
	.long	1470716454                      ; 0x57a95a26
	.long	2288582385                      ; 0x8868fef1
	;; [unrolled: 1-line block ×4, first 2 shown]
	.long	167227868                       ; 0x9f7b1dc
	.long	3085506034                      ; 0xb7e915f2
	.long	3365950545                      ; 0xc8a05451
	.long	901169164                       ; 0x35b6c00c
	.long	1345986409                      ; 0x503a1f69
	.long	197195155                       ; 0xbc0f593
	.long	2644113318                      ; 0x9d99f7a6
	.long	2491271090                      ; 0x947dc7b2
	;; [unrolled: 1-line block ×3, first 2 shown]
	.long	170335901                       ; 0xa271e9d
	.long	2540851884                      ; 0x977252ac
	.long	2584420407                      ; 0x9a0b2037
	;; [unrolled: 1-line block ×7, first 2 shown]
	.long	110647395                       ; 0x6985863
	.long	2822981113                      ; 0xa84345f9
	.long	1447103309                      ; 0x56410b4d
	;; [unrolled: 1-line block ×6, first 2 shown]
	.long	38676169                        ; 0x24e26c9
	.long	2431628817                      ; 0x90efb611
	.long	2836918800                      ; 0xa917f210
	.long	272023527                       ; 0x1036bfe7
	.long	4010280501                      ; 0xef080635
	.long	2794421955                      ; 0xa68f7ec3
	;; [unrolled: 1-line block ×3, first 2 shown]
	.long	452404203                       ; 0x1af723eb
	.long	584718212                       ; 0x22da1784
	.long	3991257933                      ; 0xede5c34d
	.long	1455821656                      ; 0x56c61358
	.long	4264066935                      ; 0xfe287f77
	.long	1150980581                      ; 0x449a91e5
	.long	3792433350                      ; 0xe20bf0c6
	.long	2151631692                      ; 0x803f4b4c
	.long	441521402                       ; 0x1a5114fa
	.long	3807587668                      ; 0xe2f32d54
	.long	275969953                       ; 0x1072f7a1
	.long	3970844623                      ; 0xecae47cf
	.long	3965914153                      ; 0xec630c29
	.long	3909107329                      ; 0xe9003e81
	.long	290225599                       ; 0x114c7dbf
	.long	957520066                       ; 0x391298c2
	.long	4048181850                      ; 0xf14a5a5a
	.long	4011285909                      ; 0xef175d95
	;; [unrolled: 1-line block ×3, first 2 shown]
	.long	540091753                       ; 0x20312569
	.long	3072448879                      ; 0xb721d96f
	.long	2386916346                      ; 0x8e4573fa
	;; [unrolled: 1-line block ×5, first 2 shown]
	.long	314807135                       ; 0x12c3935f
	.long	2916930821                      ; 0xaddcd505
	.long	840822698                       ; 0x321defaa
	.long	2332027308                      ; 0x8affe9ac
	.long	1967082817                      ; 0x753f4d41
	.long	1849256214                      ; 0x6e396916
	.long	1141134412                      ; 0x4404544c
	.long	960593185                       ; 0x39417d21
	.long	2088102210                      ; 0x7c75e942
	.long	4170914605                      ; 0xf89b1b2d
	;; [unrolled: 1-line block ×3, first 2 shown]
	.long	59190648                        ; 0x3872d78
	.long	2261593014                      ; 0x86cd2bb6
	.long	1314626253                      ; 0x4e5b9acd
	.long	500606287                       ; 0x1dd6a54f
	.long	413229420                       ; 0x18a1616c
	.long	1245395908                      ; 0x4a3b3bc4
	.long	3401527918                      ; 0xcabf326e
	;; [unrolled: 1-line block ×9, first 2 shown]
	.long	229857331                       ; 0xdb35833
	.long	3086071450                      ; 0xb7f1b69a
	.long	3363644507                      ; 0xc87d245b
	.long	812015573                       ; 0x30665fd5
	.long	2214355282                      ; 0x83fc6152
	.long	2232635690                      ; 0x8513512a
	;; [unrolled: 1-line block ×4, first 2 shown]
	.long	470752564                       ; 0x1c0f1d34
	.long	2527480795                      ; 0x96a64bdb
	.long	1285499716                      ; 0x4c9f2b44
	.long	220173566                       ; 0xd1f94fe
	.long	2294101261                      ; 0x88bd350d
	.long	788168494                       ; 0x2efa7f2e
	.long	3748855859                      ; 0xdf730033
	.long	1360707769                      ; 0x511ac0b9
	.long	449512212                       ; 0x1acb0314
	.long	28595866                        ; 0x1b4569a
	.long	2880205975                      ; 0xabac7497
	.long	2755133627                      ; 0xa43800bb
	.long	372409230                       ; 0x1632838e
	.long	411800575                       ; 0x188b93ff
	.long	1905311140                      ; 0x7190bda4
	.long	4080817864                      ; 0xf33c56c8
	;; [unrolled: 1-line block ×5, first 2 shown]
	.long	148561593                       ; 0x8dadeb9
	.long	1026062474                      ; 0x3d28788a
	.long	1849785784                      ; 0x6e417db8
	;; [unrolled: 1-line block ×3, first 2 shown]
	.long	4214448                         ; 0x404eb0
	.long	2237247821                      ; 0x8559b14d
	.long	30890894                        ; 0x1d75b8e
	.long	1108618048                      ; 0x42142b40
	.long	272438799                       ; 0x103d160f
	.long	3339891045                      ; 0xc712b165
	.long	169576507                       ; 0xa1b883b
	.long	1310038443                      ; 0x4e1599ab
	.long	2431938882                      ; 0x90f47142
	;; [unrolled: 1-line block ×5, first 2 shown]
	.long	861206186                       ; 0x3354f6aa
	.long	290322827                       ; 0x114df98b
	.long	2736623609                      ; 0xa31d8ff9
	.long	327318125                       ; 0x13827a6d
	.long	3408620608                      ; 0xcb2b6c40
	.long	1939922519                      ; 0x73a0de57
	;; [unrolled: 1-line block ×6, first 2 shown]
	.long	47774461                        ; 0x2d8fafd
	.long	3858864626                      ; 0xe60199f2
	.long	3294523981                      ; 0xc45e724d
	;; [unrolled: 1-line block ×5, first 2 shown]
	.long	811307482                       ; 0x305b91da
	.long	1743357106                      ; 0x67e984b2
	.long	419676111                       ; 0x1903bfcf
	.long	3111013241                      ; 0xb96e4b79
	.long	1799884674                      ; 0x6b480f82
	.long	1720546272                      ; 0x668d73e0
	.long	3900863156                      ; 0xe88272b4
	.long	3506303345                      ; 0xd0fdf171
	.long	1474164586                      ; 0x57ddf76a
	.long	576775454                       ; 0x2260e51e
	.long	2246605826                      ; 0x85e87c02
	.long	215030128                       ; 0xcd11970
	.long	871645668                       ; 0x33f441e4
	.long	2968519387                      ; 0xb0f002db
	.long	619000856                       ; 0x24e53418
	.long	316965236                       ; 0x12e48174
	.long	47416561                        ; 0x2d384f1
	.long	1470716454                      ; 0x57a95a26
	.long	9648980                         ; 0x933b54
	.long	3464704266                      ; 0xce83310a
	.long	2148091363                      ; 0x800945e3
	.long	167227868                       ; 0x9f7b1dc
	.long	3085506034                      ; 0xb7e915f2
	.long	1505294373                      ; 0x59b8f825
	.long	901169164                       ; 0x35b6c00c
	.long	1345986409                      ; 0x503a1f69
	.long	197195155                       ; 0xbc0f593
	.long	2644113318                      ; 0x9d99f7a6
	.long	1227359150                      ; 0x492803ae
	;; [unrolled: 1-line block ×3, first 2 shown]
	.long	170335901                       ; 0xa271e9d
	.long	2540851884                      ; 0x977252ac
	.long	2584420407                      ; 0x9a0b2037
	;; [unrolled: 1-line block ×12, first 2 shown]
	.long	532996977                       ; 0x1fc4e371
	.long	1947501555                      ; 0x741483f3
	.long	38676169                        ; 0x24e26c9
	.long	2431628817                      ; 0x90efb611
	.long	2836918800                      ; 0xa917f210
	;; [unrolled: 1-line block ×6, first 2 shown]
	.long	452404203                       ; 0x1af723eb
	.long	1222630846                      ; 0x48dfddbe
	.long	3991257933                      ; 0xede5c34d
	;; [unrolled: 1-line block ×7, first 2 shown]
	.long	441521402                       ; 0x1a5114fa
	.long	3807587668                      ; 0xe2f32d54
	.long	275969953                       ; 0x1072f7a1
	.long	963889269                       ; 0x3973c875
	.long	3965914153                      ; 0xec630c29
	.long	3909107329                      ; 0xe9003e81
	.long	290225599                       ; 0x114c7dbf
	.long	957520066                       ; 0x391298c2
	.long	4176220201                      ; 0xf8ec1029
	.long	4011285909                      ; 0xef175d95
	.long	1957371891                      ; 0x74ab1ff3
	.long	540091753                       ; 0x20312569
	.long	3072448879                      ; 0xb721d96f
	.long	1810164615                      ; 0x6be4eb87
	;; [unrolled: 1-line block ×5, first 2 shown]
	.long	314807135                       ; 0x12c3935f
	.long	2672526663                      ; 0x9f4b8547
	.long	840822698                       ; 0x321defaa
	.long	2332027308                      ; 0x8affe9ac
	.long	1967082817                      ; 0x753f4d41
	;; [unrolled: 1-line block ×3, first 2 shown]
	.long	734862208                       ; 0x2bcd1b80
	.long	960593185                       ; 0x39417d21
	.long	2088102210                      ; 0x7c75e942
	.long	4170914605                      ; 0xf89b1b2d
	;; [unrolled: 1-line block ×6, first 2 shown]
	.long	500606287                       ; 0x1dd6a54f
	.long	413229420                       ; 0x18a1616c
	;; [unrolled: 1-line block ×3, first 2 shown]
	.long	3401527918                      ; 0xcabf326e
	.long	2726979120                      ; 0xa28a6630
	;; [unrolled: 1-line block ×4, first 2 shown]
	.long	708987193                       ; 0x2a424939
	.long	1683077666                      ; 0x6451ba22
	.long	4262833629                      ; 0xfe15addd
	;; [unrolled: 1-line block ×3, first 2 shown]
	.long	229857331                       ; 0xdb35833
	.long	749849397                       ; 0x2cb1cb35
	.long	3363644507                      ; 0xc87d245b
	.long	812015573                       ; 0x30665fd5
	.long	2214355282                      ; 0x83fc6152
	.long	2232635690                      ; 0x8513512a
	;; [unrolled: 1-line block ×4, first 2 shown]
	.long	470752564                       ; 0x1c0f1d34
	.long	2527480795                      ; 0x96a64bdb
	.long	1285499716                      ; 0x4c9f2b44
	.long	941862108                       ; 0x3823acdc
	.long	2294101261                      ; 0x88bd350d
	.long	788168494                       ; 0x2efa7f2e
	.long	3748855859                      ; 0xdf730033
	.long	1360707769                      ; 0x511ac0b9
	.long	3818227212                      ; 0xe395860c
	.long	28595866                        ; 0x1b4569a
	.long	2880205975                      ; 0xabac7497
	.long	2755133627                      ; 0xa43800bb
	.long	372409230                       ; 0x1632838e
	.long	570110534                       ; 0x21fb3246
	.long	1905311140                      ; 0x7190bda4
	.long	4080817864                      ; 0xf33c56c8
	.long	3556684908                      ; 0xd3feb46c
	.long	2857940866                      ; 0xaa58b782
	.long	2253777974                      ; 0x8655ec36
	.long	148561593                       ; 0x8dadeb9
	.long	1026062474                      ; 0x3d28788a
	.long	1849785784                      ; 0x6e417db8
	;; [unrolled: 1-line block ×5, first 2 shown]
	.long	30890894                        ; 0x1d75b8e
	.long	1108618048                      ; 0x42142b40
	.long	272438799                       ; 0x103d160f
	.long	3996203631                      ; 0xee313a6f
	.long	169576507                       ; 0xa1b883b
	.long	1310038443                      ; 0x4e1599ab
	.long	2431938882                      ; 0x90f47142
	;; [unrolled: 1-line block ×5, first 2 shown]
	.long	861206186                       ; 0x3354f6aa
	.long	290322827                       ; 0x114df98b
	.long	2736623609                      ; 0xa31d8ff9
	.long	1184217272                      ; 0x4695b8b8
	;; [unrolled: 1-line block ×8, first 2 shown]
	.long	47774461                        ; 0x2d8fafd
	.long	3858864626                      ; 0xe60199f2
	.long	3294523981                      ; 0xc45e724d
	.long	2611619                         ; 0x27d9a3
	.long	1228896851                      ; 0x493f7a53
	.long	2633378137                      ; 0x9cf62959
	.long	811307482                       ; 0x305b91da
	.long	1743357106                      ; 0x67e984b2
	.long	1930089302                      ; 0x730ad356
	;; [unrolled: 1-line block ×8, first 2 shown]
	.long	576775454                       ; 0x2260e51e
	.long	2246605826                      ; 0x85e87c02
	.long	215030128                       ; 0xcd11970
	.long	540197019                       ; 0x2032c09b
	.long	2968519387                      ; 0xb0f002db
	.long	619000856                       ; 0x24e53418
	.long	316965236                       ; 0x12e48174
	.long	47416561                        ; 0x2d384f1
	.long	3585128733                      ; 0xd5b0b91d
	.long	9648980                         ; 0x933b54
	.long	3464704266                      ; 0xce83310a
	.long	2148091363                      ; 0x800945e3
	.long	167227868                       ; 0x9f7b1dc
	.long	509283324                       ; 0x1e5b0bfc
	.long	1505294373                      ; 0x59b8f825
	.long	901169164                       ; 0x35b6c00c
	.long	1345986409                      ; 0x503a1f69
	;; [unrolled: 2-line block ×3, first 2 shown]
	.long	1227359150                      ; 0x492803ae
	.long	3243741640                      ; 0xc15791c8
	.long	170335901                       ; 0xa271e9d
	.long	2540851884                      ; 0x977252ac
	.long	2812935262                      ; 0xa7a9fc5e
	;; [unrolled: 1-line block ×11, first 2 shown]
	.long	389184524                       ; 0x17327c0c
	.long	532996977                       ; 0x1fc4e371
	.long	1947501555                      ; 0x741483f3
	.long	38676169                        ; 0x24e26c9
	.long	2431628817                      ; 0x90efb611
	.long	1055068556                      ; 0x3ee3118c
	;; [unrolled: 1-line block ×6, first 2 shown]
	.long	965687576                       ; 0x398f3918
	.long	1222630846                      ; 0x48dfddbe
	.long	3991257933                      ; 0xede5c34d
	;; [unrolled: 1-line block ×7, first 2 shown]
	.long	441521402                       ; 0x1a5114fa
	.long	3807587668                      ; 0xe2f32d54
	.long	3701529910                      ; 0xdca0dd36
	.long	963889269                       ; 0x3973c875
	.long	3965914153                      ; 0xec630c29
	.long	3909107329                      ; 0xe9003e81
	;; [unrolled: 3-line block ×3, first 2 shown]
	.long	4011285909                      ; 0xef175d95
	.long	1957371891                      ; 0x74ab1ff3
	.long	540091753                       ; 0x20312569
	.long	1670159873                      ; 0x638c9e01
	.long	1810164615                      ; 0x6be4eb87
	;; [unrolled: 1-line block ×7, first 2 shown]
	.long	840822698                       ; 0x321defaa
	.long	2332027308                      ; 0x8affe9ac
	.long	1967082817                      ; 0x753f4d41
	;; [unrolled: 1-line block ×3, first 2 shown]
	.long	734862208                       ; 0x2bcd1b80
	.long	960593185                       ; 0x39417d21
	.long	2088102210                      ; 0x7c75e942
	.long	4170914605                      ; 0xf89b1b2d
	;; [unrolled: 1-line block ×6, first 2 shown]
	.long	500606287                       ; 0x1dd6a54f
	.long	1100764382                      ; 0x419c54de
	.long	970185057                       ; 0x39d3d961
	.long	3401527918                      ; 0xcabf326e
	.long	2726979120                      ; 0xa28a6630
	;; [unrolled: 1-line block ×4, first 2 shown]
	.long	708987193                       ; 0x2a424939
	.long	1683077666                      ; 0x6451ba22
	.long	4262833629                      ; 0xfe15addd
	;; [unrolled: 1-line block ×4, first 2 shown]
	.long	749849397                       ; 0x2cb1cb35
	.long	3363644507                      ; 0xc87d245b
	.long	812015573                       ; 0x30665fd5
	.long	2214355282                      ; 0x83fc6152
	.long	3217409412                      ; 0xbfc5c584
	;; [unrolled: 1-line block ×4, first 2 shown]
	.long	470752564                       ; 0x1c0f1d34
	.long	2527480795                      ; 0x96a64bdb
	.long	552979949                       ; 0x20f5cded
	.long	941862108                       ; 0x3823acdc
	.long	2294101261                      ; 0x88bd350d
	.long	788168494                       ; 0x2efa7f2e
	.long	3748855859                      ; 0xdf730033
	.long	2355231228                      ; 0x8c61f9fc
	;; [unrolled: 1-line block ×3, first 2 shown]
	.long	28595866                        ; 0x1b4569a
	.long	2880205975                      ; 0xabac7497
	.long	2755133627                      ; 0xa43800bb
	.long	833553378                       ; 0x31af03e2
	.long	570110534                       ; 0x21fb3246
	.long	1905311140                      ; 0x7190bda4
	.long	4080817864                      ; 0xf33c56c8
	;; [unrolled: 1-line block ×5, first 2 shown]
	.long	148561593                       ; 0x8dadeb9
	.long	1026062474                      ; 0x3d28788a
	.long	1849785784                      ; 0x6e417db8
	.long	656329297                       ; 0x271eca51
	.long	1525559608                      ; 0x5aee3138
	.long	2237247821                      ; 0x8559b14d
	.long	30890894                        ; 0x1d75b8e
	.long	1108618048                      ; 0x42142b40
	.long	1464443032                      ; 0x5749a098
	;; [unrolled: 1-line block ×3, first 2 shown]
	.long	169576507                       ; 0xa1b883b
	.long	1310038443                      ; 0x4e1599ab
	.long	2431938882                      ; 0x90f47142
	.long	2100788071                      ; 0x7d377b67
	.long	2857841871                      ; 0xaa5734cf
	.long	4119485855                      ; 0xf58a5d9f
	.long	861206186                       ; 0x3354f6aa
	.long	290322827                       ; 0x114df98b
	.long	3653047356                      ; 0xd9bd143c
	.long	1184217272                      ; 0x4695b8b8
	;; [unrolled: 1-line block ×8, first 2 shown]
	.long	47774461                        ; 0x2d8fafd
	.long	3858864626                      ; 0xe60199f2
	.long	1046565728                      ; 0x3e615360
	.long	2611619                         ; 0x27d9a3
	.long	1228896851                      ; 0x493f7a53
	.long	2633378137                      ; 0x9cf62959
	.long	811307482                       ; 0x305b91da
	.long	1312393456                      ; 0x4e3988f0
	.long	1930089302                      ; 0x730ad356
	;; [unrolled: 1-line block ×18, first 2 shown]
	.long	520376289                       ; 0x1f044fe1
	.long	4154435769                      ; 0xf79fa8b9
	.long	1280565077                      ; 0x4c53df55
	;; [unrolled: 1-line block ×8, first 2 shown]
	.long	561022685                       ; 0x217086dd
	.long	2712685799                      ; 0xa1b04ce7
	.long	1501252058                      ; 0x597b49da
	;; [unrolled: 1-line block ×6, first 2 shown]
	.long	892700607                       ; 0x353587bf
	.long	2012017510                      ; 0x77ecf366
	.long	3568315757                      ; 0xd4b02d6d
	;; [unrolled: 1-line block ×6, first 2 shown]
	.long	199831087                       ; 0xbe92e2f
	.long	1261208885                      ; 0x4b2c8535
	.long	2058433786                      ; 0x7ab134fa
	;; [unrolled: 1-line block ×3, first 2 shown]
	.long	220966013                       ; 0xd2bac7d
	.long	3445375335                      ; 0xcd5c4167
	.long	1100438514                      ; 0x41975bf2
	;; [unrolled: 1-line block ×5, first 2 shown]
	.long	150102478                       ; 0x8f261ce
	.long	3337395219                      ; 0xc6ec9c13
	.long	2464869101                      ; 0x92eaeaed
	;; [unrolled: 1-line block ×3, first 2 shown]
	.long	93353579                        ; 0x590766b
	.long	2329780067                      ; 0x8add9f63
	.long	777826834                       ; 0x2e5cb212
	.long	2745626035                      ; 0xa3a6edb3
	.long	2984812746                      ; 0xb1e8a0ca
	.long	568848158                       ; 0x21e7ef1e
	.long	1593919595                      ; 0x5f01486b
	.long	1166619196                      ; 0x4589323c
	.long	96177504                        ; 0x5bb8d60
	.long	305329591                       ; 0x1232f5b7
	.long	4271176854                      ; 0xfe94fc96
	.long	3829149188                      ; 0xe43c2e04
	;; [unrolled: 1-line block ×8, first 2 shown]
	.long	434935608                       ; 0x19ec9738
	.long	702805370                       ; 0x29e3f57a
	.long	3544156958                      ; 0xd33f8b1e
	.long	792712531                       ; 0x2f3fd553
	.long	231019757                       ; 0xdc514ed
	.long	136272259                       ; 0x81f5983
	.long	4049968615                      ; 0xf1659de7
	.long	2722527811                      ; 0xa2467a43
	.long	603697698                       ; 0x23fbb222
	.long	2891035509                      ; 0xac51b375
	.long	4270409302                      ; 0xfe894656
	;; [unrolled: 1-line block ×5, first 2 shown]
	.long	468729683                       ; 0x1bf03f53
	.long	2377913518                      ; 0x8dbc14ae
	.long	2068946556                      ; 0x7b519e7c
	.long	530579176                       ; 0x1f9ffee8
	.long	1422294615                      ; 0x54c67e57
	.long	4032799503                      ; 0xf05fa30f
	;; [unrolled: 1-line block ×3, first 2 shown]
	.long	604700228                       ; 0x240afe44
	.long	98049660                        ; 0x5d81e7c
	.long	3182511353                      ; 0xbdb144f9
	.long	935830212                       ; 0x37c7a2c4
	.long	1938107848                      ; 0x73852dc8
	.long	1266035034                      ; 0x4b76295a
	.long	957505506                       ; 0x39125fe2
	.long	2758220503                      ; 0xa4671ad7
	.long	1805223938                      ; 0x6b998802
	;; [unrolled: 1-line block ×6, first 2 shown]
	.long	276889675                       ; 0x1081004b
	.long	3098939423                      ; 0xb8b6101f
	.long	415941187                       ; 0x18cac243
	.long	180737121                       ; 0xac5d461
	.long	2638873657                      ; 0x9d4a0439
	.long	1103150707                      ; 0x41c0be73
	;; [unrolled: 1-line block ×6, first 2 shown]
	.long	538129710                       ; 0x2013352e
	.long	3337005391                      ; 0xc6e6a94f
	.long	3941968393                      ; 0xeaf5aa09
	;; [unrolled: 1-line block ×5, first 2 shown]
	.long	296314749                       ; 0x11a9677d
	.long	1697642748                      ; 0x652ff8fc
	.long	3614403315                      ; 0xd76f6af3
	;; [unrolled: 1-line block ×8, first 2 shown]
	.long	886914072                       ; 0x34dd3c18
	.long	1884037075                      ; 0x704c1fd3
	.long	4135819784                      ; 0xf6839a08
	;; [unrolled: 1-line block ×9, first 2 shown]
	.long	165724720                       ; 0x9e0c230
	.long	2277165385                      ; 0x87bac949
	.long	1984963196                      ; 0x7650227c
	;; [unrolled: 1-line block ×5, first 2 shown]
	.long	47522558                        ; 0x2d522fe
	.long	1903557801                      ; 0x7175fca9
	.long	1959641458                      ; 0x74cdc172
	;; [unrolled: 1-line block ×9, first 2 shown]
	.long	601509698                       ; 0x23da4f42
	.long	3207357979                      ; 0xbf2c661b
	.long	1189285184                      ; 0x46e30d40
	.long	148538800                       ; 0x8da85b0
	.long	2077251302                      ; 0x7bd056e6
	.long	3267239327                      ; 0xc2be1d9f
	;; [unrolled: 1-line block ×8, first 2 shown]
	.long	536776894                       ; 0x1ffe90be
	.long	3742490940                      ; 0xdf11e13c
	.long	550084334                       ; 0x20c99eee
	.long	2441329856                      ; 0x9183bcc0
	.long	2604618499                      ; 0x9b3f5303
	.long	2308745810                      ; 0x899caa52
	.long	1178166365                      ; 0x4639645d
	.long	1345165241                      ; 0x502d97b9
	.long	4039508109                      ; 0xf0c6008d
	.long	1246601384                      ; 0x4a4da0a8
	.long	3843182157                      ; 0xe5124e4d
	.long	2200144237                      ; 0x8323896d
	.long	91750284                        ; 0x577ff8c
	.long	4290064840                      ; 0xffb531c8
	.long	3363597477                      ; 0xc87c6ca5
	.long	3243492274                      ; 0xc153c3b2
	.long	4271100308                      ; 0xfe93d194
	.long	4186328336                      ; 0xf9864d10
	.long	2291901989                      ; 0x889ba625
	.long	1834723222                      ; 0x6d5ba796
	.long	372220743                       ; 0x162fa347
	.long	2190417067                      ; 0x828f1cab
	.long	2624886324                      ; 0x9c749634
	;; [unrolled: 1-line block ×6, first 2 shown]
	.long	232820452                       ; 0xde08ee4
	.long	2714694382                      ; 0xa1cef2ee
	.long	3070258434                      ; 0xb7006d02
	;; [unrolled: 1-line block ×4, first 2 shown]
	.long	249083056                       ; 0xed8b4b0
	.long	4166379751                      ; 0xf855e8e7
	.long	1360927521                      ; 0x511e1b21
	;; [unrolled: 1-line block ×12, first 2 shown]
	.long	738357340                       ; 0x2c02705c
	.long	2597170030                      ; 0x9acdab6e
	.long	1689737432                      ; 0x64b758d8
	;; [unrolled: 1-line block ×7, first 2 shown]
	.long	938972594                       ; 0x37f795b2
	.long	2121583885                      ; 0x7e74cd0d
	.long	2208729114                      ; 0x83a6881a
	.long	276726877                       ; 0x107e845d
	.long	3973538591                      ; 0xecd7631f
	.long	2991069145                      ; 0xb24817d9
	.long	2345655326                      ; 0x8bcfdc1e
	.long	2980162173                      ; 0xb1a1aa7d
	.long	1915611444                      ; 0x722de934
	.long	2332104940                      ; 0x8b0118ec
	.long	2382102873                      ; 0x8dfc0159
	.long	2324437093                      ; 0x8a8c1865
	.long	2640563452                      ; 0x9d63ccfc
	.long	2680619359                      ; 0x9fc7015f
	.long	3413490949                      ; 0xcb75bd05
	.long	2140843463                      ; 0x7f9aadc7
	.long	2424016743                      ; 0x907b8f67
	.long	3735508133                      ; 0xdea754a5
	.long	3421831326                      ; 0xcbf5009e
	.long	4037977349                      ; 0xf0aea505
	.long	3721506282                      ; 0xddd1adea
	.long	510431975                       ; 0x1e6c92e7
	.long	1014707294                      ; 0x3c7b345e
	.long	1378686477                      ; 0x522d160d
	;; [unrolled: 1-line block ×5, first 2 shown]
	.long	309274614                       ; 0x126f27f6
	.long	276596103                       ; 0x107c8587
	.long	3757624719                      ; 0xdff8cd8f
	.long	1212251468                      ; 0x48417d4c
	;; [unrolled: 1-line block ×12, first 2 shown]
	.long	331655838                       ; 0x13c4aa9e
	.long	326568491                       ; 0x13770a2b
	.long	1867863527                      ; 0x6f5555e7
	.long	1550945400                      ; 0x5c718c78
	;; [unrolled: 1-line block ×5, first 2 shown]
	.long	586483056                       ; 0x22f50570
	.long	147951307                       ; 0x8d18ecb
	;; [unrolled: 1-line block ×3, first 2 shown]
	.long	3823927166                      ; 0xe3ec7f7e
	.long	2789767841                      ; 0xa6487aa1
	;; [unrolled: 1-line block ×3, first 2 shown]
	.long	634238762                       ; 0x25cdb72a
	.long	4084629478                      ; 0xf3767fe6
	.long	3878778788                      ; 0xe73177a4
	.long	435990088                       ; 0x19fcae48
	.long	1724770389                      ; 0x66cde855
	.long	1403031256                      ; 0x53a08ed8
	;; [unrolled: 1-line block ×6, first 2 shown]
	.long	80675548                        ; 0x4cf02dc
	.long	1637232257                      ; 0x61962e81
	.long	1856565474                      ; 0x6ea8f0e2
	;; [unrolled: 1-line block ×9, first 2 shown]
	.long	278236392                       ; 0x10958ce8
	.long	1700614299                      ; 0x655d509b
	.long	2765246084                      ; 0xa4d24e84
	;; [unrolled: 1-line block ×7, first 2 shown]
	.long	523552281                       ; 0x1f34c619
	.long	703813725                       ; 0x29f3585d
	.long	3110126767                      ; 0xb960c4af
	.long	823843890                       ; 0x311adc32
	.long	290243102                       ; 0x114cc21e
	;; [unrolled: 1-line block ×4, first 2 shown]
	.long	3381862130                      ; 0xc9931ef2
	.long	2305271841                      ; 0x8967a821
	.long	356059263                       ; 0x1539087f
	.long	2558018765                      ; 0x987844cd
	.long	3235968999                      ; 0xc0e0f7e7
	;; [unrolled: 1-line block ×16, first 2 shown]
	.long	536776894                       ; 0x1ffe90be
	.long	3742490940                      ; 0xdf11e13c
	.long	550084334                       ; 0x20c99eee
	.long	2441329856                      ; 0x9183bcc0
	.long	1909596092                      ; 0x71d21fbc
	;; [unrolled: 1-line block ×9, first 2 shown]
	.long	91750284                        ; 0x577ff8c
	.long	4290064840                      ; 0xffb531c8
	.long	803098068                       ; 0x2fde4dd4
	.long	3243492274                      ; 0xc153c3b2
	.long	4271100308                      ; 0xfe93d194
	;; [unrolled: 1-line block ×5, first 2 shown]
	.long	372220743                       ; 0x162fa347
	.long	2190417067                      ; 0x828f1cab
	.long	2624886324                      ; 0x9c749634
	.long	3567647862                      ; 0xd4a5fc76
	.long	132569424                       ; 0x7e6d950
	.long	2278087682                      ; 0x87c8dc02
	.long	2461678432                      ; 0x92ba3b60
	.long	232820452                       ; 0xde08ee4
	.long	2714694382                      ; 0xa1cef2ee
	.long	3490648253                      ; 0xd00f10bd
	;; [unrolled: 1-line block ×4, first 2 shown]
	.long	249083056                       ; 0xed8b4b0
	.long	4166379751                      ; 0xf855e8e7
	.long	3503294711                      ; 0xd0d008f7
	;; [unrolled: 1-line block ×11, first 2 shown]
	.long	816420552                       ; 0x30a996c8
	.long	738357340                       ; 0x2c02705c
	.long	2597170030                      ; 0x9acdab6e
	.long	1689737432                      ; 0x64b758d8
	;; [unrolled: 1-line block ×3, first 2 shown]
	.long	397934907                       ; 0x17b8013b
	.long	1008175050                      ; 0x3c1787ca
	.long	2004702919                      ; 0x777d56c7
	;; [unrolled: 1-line block ×3, first 2 shown]
	.long	938972594                       ; 0x37f795b2
	.long	156733019                       ; 0x9578e5b
	.long	2208729114                      ; 0x83a6881a
	.long	276726877                       ; 0x107e845d
	.long	3973538591                      ; 0xecd7631f
	.long	2991069145                      ; 0xb24817d9
	;; [unrolled: 1-line block ×12, first 2 shown]
	.long	142464483                       ; 0x87dd5e3
	.long	3735508133                      ; 0xdea754a5
	.long	3421831326                      ; 0xcbf5009e
	;; [unrolled: 1-line block ×10, first 2 shown]
	.long	309274614                       ; 0x126f27f6
	.long	276596103                       ; 0x107c8587
	.long	3757624719                      ; 0xdff8cd8f
	.long	1212251468                      ; 0x48417d4c
	;; [unrolled: 1-line block ×7, first 2 shown]
	.long	880658361                       ; 0x347dc7b9
	.long	3775019657                      ; 0xe1023a89
	.long	2018542036                      ; 0x785081d4
	;; [unrolled: 1-line block ×4, first 2 shown]
	.long	839516623                       ; 0x320a01cf
	.long	326568491                       ; 0x13770a2b
	.long	1867863527                      ; 0x6f5555e7
	.long	1550945400                      ; 0x5c718c78
	;; [unrolled: 1-line block ×3, first 2 shown]
	.long	420309880                       ; 0x190d6b78
	.long	3949479453                      ; 0xeb68461d
	.long	586483056                       ; 0x22f50570
	.long	147951307                       ; 0x8d18ecb
	;; [unrolled: 1-line block ×4, first 2 shown]
	.long	2789767841                      ; 0xa6487aa1
	.long	3121654578                      ; 0xba10ab32
	.long	634238762                       ; 0x25cdb72a
	.long	4084629478                      ; 0xf3767fe6
	.long	1120413065                      ; 0x42c82589
	.long	435990088                       ; 0x19fcae48
	.long	1724770389                      ; 0x66cde855
	.long	1403031256                      ; 0x53a08ed8
	;; [unrolled: 1-line block ×3, first 2 shown]
	.long	240966420                       ; 0xe5cdb14
	.long	3288769545                      ; 0xc406a409
	.long	2793293893                      ; 0xa67e4845
	.long	80675548                        ; 0x4cf02dc
	.long	1637232257                      ; 0x61962e81
	.long	1785064235                      ; 0x6a65eb2b
	;; [unrolled: 1-line block ×9, first 2 shown]
	.long	278236392                       ; 0x10958ce8
	.long	1700614299                      ; 0x655d509b
	.long	2439624528                      ; 0x9169b750
	;; [unrolled: 1-line block ×6, first 2 shown]
	.long	366933679                       ; 0x15def6af
	.long	523552281                       ; 0x1f34c619
	;; [unrolled: 1-line block ×3, first 2 shown]
	.long	3110126767                      ; 0xb960c4af
	.long	823843890                       ; 0x311adc32
	.long	132468066                       ; 0x7e54d62
	;; [unrolled: 1-line block ×4, first 2 shown]
	.long	3381862130                      ; 0xc9931ef2
	.long	2305271841                      ; 0x8967a821
	;; [unrolled: 1-line block ×12, first 2 shown]
	.long	324524850                       ; 0x1357db32
	.long	4211583637                      ; 0xfb07aa95
	.long	2628162153                      ; 0x9ca69269
	;; [unrolled: 1-line block ×6, first 2 shown]
	.long	536776894                       ; 0x1ffe90be
	.long	3742490940                      ; 0xdf11e13c
	.long	550084334                       ; 0x20c99eee
	.long	2121458511                      ; 0x7e72e34f
	.long	1909596092                      ; 0x71d21fbc
	.long	2308745810                      ; 0x899caa52
	.long	1178166365                      ; 0x4639645d
	.long	1345165241                      ; 0x502d97b9
	.long	3067877274                      ; 0xb6dc179a
	.long	1349347043                      ; 0x506d66e3
	.long	3843182157                      ; 0xe5124e4d
	.long	2200144237                      ; 0x8323896d
	.long	91750284                        ; 0x577ff8c
	.long	1246148630                      ; 0x4a46b816
	.long	803098068                       ; 0x2fde4dd4
	.long	3243492274                      ; 0xc153c3b2
	.long	4271100308                      ; 0xfe93d194
	;; [unrolled: 1-line block ×5, first 2 shown]
	.long	372220743                       ; 0x162fa347
	.long	2190417067                      ; 0x828f1cab
	.long	2624886324                      ; 0x9c749634
	;; [unrolled: 1-line block ×3, first 2 shown]
	.long	132569424                       ; 0x7e6d950
	.long	2278087682                      ; 0x87c8dc02
	.long	2461678432                      ; 0x92ba3b60
	.long	232820452                       ; 0xde08ee4
	.long	3341915918                      ; 0xc731970e
	.long	3490648253                      ; 0xd00f10bd
	;; [unrolled: 1-line block ×4, first 2 shown]
	.long	249083056                       ; 0xed8b4b0
	.long	2307336284                      ; 0x8987285c
	.long	3503294711                      ; 0xd0d008f7
	;; [unrolled: 1-line block ×10, first 2 shown]
	.long	971917867                       ; 0x39ee4a2b
	.long	816420552                       ; 0x30a996c8
	;; [unrolled: 1-line block ×3, first 2 shown]
	.long	2597170030                      ; 0x9acdab6e
	.long	1689737432                      ; 0x64b758d8
	.long	243915062                       ; 0xe89d936
	.long	397934907                       ; 0x17b8013b
	.long	1008175050                      ; 0x3c1787ca
	.long	2004702919                      ; 0x777d56c7
	;; [unrolled: 1-line block ×4, first 2 shown]
	.long	156733019                       ; 0x9578e5b
	.long	2208729114                      ; 0x83a6881a
	.long	276726877                       ; 0x107e845d
	.long	3973538591                      ; 0xecd7631f
	.long	1909483753                      ; 0x71d068e9
	;; [unrolled: 1-line block ×11, first 2 shown]
	.long	462852932                       ; 0x1b969344
	.long	142464483                       ; 0x87dd5e3
	.long	3735508133                      ; 0xdea754a5
	.long	3421831326                      ; 0xcbf5009e
	;; [unrolled: 1-line block ×8, first 2 shown]
	.long	752503486                       ; 0x2cda4abe
	.long	4085776926                      ; 0xf388021e
	.long	309274614                       ; 0x126f27f6
	.long	276596103                       ; 0x107c8587
	.long	3757624719                      ; 0xdff8cd8f
	.long	4193030119                      ; 0xf9ec8fe7
	;; [unrolled: 1-line block ×7, first 2 shown]
	.long	880658361                       ; 0x347dc7b9
	.long	3775019657                      ; 0xe1023a89
	.long	2018542036                      ; 0x785081d4
	;; [unrolled: 1-line block ×4, first 2 shown]
	.long	839516623                       ; 0x320a01cf
	.long	326568491                       ; 0x13770a2b
	.long	1867863527                      ; 0x6f5555e7
	.long	1550945400                      ; 0x5c718c78
	;; [unrolled: 1-line block ×3, first 2 shown]
	.long	420309880                       ; 0x190d6b78
	.long	3949479453                      ; 0xeb68461d
	.long	586483056                       ; 0x22f50570
	.long	147951307                       ; 0x8d18ecb
	.long	1639139280                      ; 0x61b347d0
	.long	416618471                       ; 0x18d517e7
	.long	2789767841                      ; 0xa6487aa1
	.long	3121654578                      ; 0xba10ab32
	.long	634238762                       ; 0x25cdb72a
	.long	3622035469                      ; 0xd7e3e00d
	;; [unrolled: 3-line block ×3, first 2 shown]
	.long	1403031256                      ; 0x53a08ed8
	.long	3548817929                      ; 0xd386aa09
	.long	240966420                       ; 0xe5cdb14
	.long	3288769545                      ; 0xc406a409
	.long	2793293893                      ; 0xa67e4845
	.long	80675548                        ; 0x4cf02dc
	.long	3119506726                      ; 0xb9efe526
	.long	1785064235                      ; 0x6a65eb2b
	;; [unrolled: 1-line block ×9, first 2 shown]
	.long	278236392                       ; 0x10958ce8
	.long	3487875111                      ; 0xcfe4c027
	.long	2439624528                      ; 0x9169b750
	;; [unrolled: 1-line block ×6, first 2 shown]
	.long	366933679                       ; 0x15def6af
	.long	523552281                       ; 0x1f34c619
	;; [unrolled: 1-line block ×3, first 2 shown]
	.long	3110126767                      ; 0xb960c4af
	.long	2477354049                      ; 0x93a96c41
	.long	132468066                       ; 0x7e54d62
	.long	821297176                       ; 0x30f40018
	;; [unrolled: 1-line block ×3, first 2 shown]
	.long	3381862130                      ; 0xc9931ef2
	.long	4065162466                      ; 0xf24d74e2
	;; [unrolled: 1-line block ×6, first 2 shown]
	.long	191819556                       ; 0xb6eef24
	.long	1699430013                      ; 0x654b3e7d
	.long	4275517214                      ; 0xfed7371e
	.long	4035198865                      ; 0xf0843f91
	.long	3339014315                      ; 0xc70550ab
	.long	3588518026                      ; 0xd5e4708a
	.long	324524850                       ; 0x1357db32
	.long	4211583637                      ; 0xfb07aa95
	.long	2628162153                      ; 0x9ca69269
	.long	3861478870                      ; 0xe6297dd6
	.long	3361198093                      ; 0xc857d00d
	.long	1995585079                      ; 0x76f23637
	.long	3254616321                      ; 0xc1fd8101
	.long	536776894                       ; 0x1ffe90be
	.long	3742490940                      ; 0xdf11e13c
	.long	3912424229                      ; 0xe932db25
	;; [unrolled: 1-line block ×13, first 2 shown]
	.long	803098068                       ; 0x2fde4dd4
	.long	3243492274                      ; 0xc153c3b2
	.long	4271100308                      ; 0xfe93d194
	.long	402141998                       ; 0x17f8332e
	.long	2932236493                      ; 0xaec660cd
	.long	2575673198                      ; 0x9985a76e
	;; [unrolled: 3-line block ×3, first 2 shown]
	.long	3945294599                      ; 0xeb286b07
	.long	132569424                       ; 0x7e6d950
	.long	2278087682                      ; 0x87c8dc02
	.long	2461678432                      ; 0x92ba3b60
	.long	708189294                       ; 0x2a361c6e
	.long	3341915918                      ; 0xc731970e
	.long	3490648253                      ; 0xd00f10bd
	;; [unrolled: 1-line block ×15, first 2 shown]
	.long	971917867                       ; 0x39ee4a2b
	.long	816420552                       ; 0x30a996c8
	;; [unrolled: 1-line block ×3, first 2 shown]
	.long	2597170030                      ; 0x9acdab6e
	.long	2306273930                      ; 0x8976f28a
	.long	243915062                       ; 0xe89d936
	.long	397934907                       ; 0x17b8013b
	.long	1008175050                      ; 0x3c1787ca
	.long	2004702919                      ; 0x777d56c7
	;; [unrolled: 1-line block ×4, first 2 shown]
	.long	156733019                       ; 0x9578e5b
	.long	2208729114                      ; 0x83a6881a
	.long	276726877                       ; 0x107e845d
	.long	2452083872                      ; 0x9227d4a0
	.long	1909483753                      ; 0x71d068e9
	;; [unrolled: 1-line block ×11, first 2 shown]
	.long	462852932                       ; 0x1b969344
	.long	142464483                       ; 0x87dd5e3
	.long	3735508133                      ; 0xdea754a5
	.long	3421831326                      ; 0xcbf5009e
	.long	25103542                        ; 0x17f0cb6
	.long	1372088341                      ; 0x51c86815
	.long	1898668265                      ; 0x712b60e9
	;; [unrolled: 1-line block ×5, first 2 shown]
	.long	752503486                       ; 0x2cda4abe
	.long	4085776926                      ; 0xf388021e
	.long	309274614                       ; 0x126f27f6
	.long	276596103                       ; 0x107c8587
	.long	3663266970                      ; 0xda59049a
	.long	4193030119                      ; 0xf9ec8fe7
	;; [unrolled: 1-line block ×5, first 2 shown]
	.long	453005903                       ; 0x1b00524f
	.long	1725105892                      ; 0x66d306e4
	.long	880658361                       ; 0x347dc7b9
	.long	3775019657                      ; 0xe1023a89
	.long	2018542036                      ; 0x785081d4
	;; [unrolled: 1-line block ×4, first 2 shown]
	.long	839516623                       ; 0x320a01cf
	.long	326568491                       ; 0x13770a2b
	.long	1867863527                      ; 0x6f5555e7
	.long	3474340574                      ; 0xcf163ade
	;; [unrolled: 1-line block ×3, first 2 shown]
	.long	420309880                       ; 0x190d6b78
	.long	3949479453                      ; 0xeb68461d
	.long	586483056                       ; 0x22f50570
	.long	297934218                       ; 0x11c21d8a
	.long	1639139280                      ; 0x61b347d0
	.long	416618471                       ; 0x18d517e7
	.long	2789767841                      ; 0xa6487aa1
	.long	3121654578                      ; 0xba10ab32
	.long	958889718                       ; 0x39277ef6
	.long	3622035469                      ; 0xd7e3e00d
	;; [unrolled: 3-line block ×3, first 2 shown]
	.long	2589603756                      ; 0x9a5a37ac
	.long	3548817929                      ; 0xd386aa09
	.long	240966420                       ; 0xe5cdb14
	.long	3288769545                      ; 0xc406a409
	.long	2793293893                      ; 0xa67e4845
	.long	972899860                       ; 0x39fd4614
	.long	3119506726                      ; 0xb9efe526
	.long	1785064235                      ; 0x6a65eb2b
	;; [unrolled: 1-line block ×9, first 2 shown]
	.long	159345352                       ; 0x97f6ac8
	.long	3487875111                      ; 0xcfe4c027
	.long	2439624528                      ; 0x9169b750
	;; [unrolled: 1-line block ×6, first 2 shown]
	.long	366933679                       ; 0x15def6af
	.long	523552281                       ; 0x1f34c619
	;; [unrolled: 1-line block ×3, first 2 shown]
	.long	1717395617                      ; 0x665d60a1
	.long	2477354049                      ; 0x93a96c41
	.long	132468066                       ; 0x7e54d62
	.long	821297176                       ; 0x30f40018
	;; [unrolled: 1-line block ×3, first 2 shown]
	.long	1088290332                      ; 0x40ddfe1c
	.long	4065162466                      ; 0xf24d74e2
	.long	1048450041                      ; 0x3e7e13f9
	.long	2558018765                      ; 0x987844cd
	.long	3235968999                      ; 0xc0e0f7e7
	.long	285340039                       ; 0x1101f187
	.long	191819556                       ; 0xb6eef24
	.long	1699430013                      ; 0x654b3e7d
	.long	4275517214                      ; 0xfed7371e
	;; [unrolled: 1-line block ×4, first 2 shown]
	.long	285121978                       ; 0x10fe9dba
	.long	1175302919                      ; 0x460db307
	.long	4101282768                      ; 0xf4749bd0
	.long	513236580                       ; 0x1e975e64
	.long	890655666                       ; 0x351653b2
	.long	3051849972                      ; 0xb5e788f4
	.long	2315486379                      ; 0x8a0384ab
	.long	3067287276                      ; 0xb6d316ec
	.long	3134806925                      ; 0xbad95b8d
	.long	3926373006                      ; 0xea07b28e
	.long	2502825498                      ; 0x952e161a
	.long	461387883                       ; 0x1b80386b
	.long	770459119                       ; 0x2dec45ef
	.long	3121636621                      ; 0xba10650d
	.long	1243065093                      ; 0x4a17ab05
	;; [unrolled: 1-line block ×3, first 2 shown]
	.long	659033930                       ; 0x27480f4a
	.long	621176955                       ; 0x2506687b
	;; [unrolled: 1-line block ×4, first 2 shown]
	.long	1168438671                      ; 0x45a4f58f
	.long	1233027650                      ; 0x497e8242
	;; [unrolled: 1-line block ×3, first 2 shown]
	.long	659404177                       ; 0x274db591
	.long	1218841419                      ; 0x48a60b4b
	.long	1226193512                      ; 0x49163a68
	.long	4247589702                      ; 0xfd2d1346
	.long	334814687                       ; 0x13f4dddf
	.long	980422670                       ; 0x3a70100e
	.long	2518384561                      ; 0x961b7fb1
	.long	4041002302                      ; 0xf0dccd3e
	.long	1203659320                      ; 0x47be6238
	.long	509643440                       ; 0x1e608ab0
	.long	2528499450                      ; 0x96b5d6fa
	.long	1512213710                      ; 0x5a228cce
	;; [unrolled: 1-line block ×6, first 2 shown]
	.long	463383787                       ; 0x1b9eaceb
	.long	1184681947                      ; 0x469ccfdb
	.long	283482187                       ; 0x10e5984b
	.long	2421891582                      ; 0x905b21fe
	.long	3200080903                      ; 0xbebd5c07
	.long	373817869                       ; 0x1648020d
	.long	452807139                       ; 0x1afd49e3
	.long	2002545143                      ; 0x775c69f7
	.long	1068199574                      ; 0x3fab6e96
	;; [unrolled: 1-line block ×3, first 2 shown]
	.long	377559317                       ; 0x16811915
	.long	1548403713                      ; 0x5c4ac401
	.long	1580741080                      ; 0x5e3831d8
	.long	253591624                       ; 0xf1d8048
	.long	759280679                       ; 0x2d41b427
	.long	2174360733                      ; 0x819a1c9d
	.long	1687952097                      ; 0x649c1ae1
	;; [unrolled: 1-line block ×4, first 2 shown]
	.long	652218568                       ; 0x26e010c8
	.long	4130230594                      ; 0xf62e5142
	.long	3757998028                      ; 0xdffe7fcc
	;; [unrolled: 1-line block ×4, first 2 shown]
	.long	229741978                       ; 0xdb1959a
	.long	1900794007                      ; 0x714bd097
	.long	201310771                       ; 0xbffc233
	.long	4075023260                      ; 0xf2e3eb9c
	.long	3390078853                      ; 0xca107f85
	;; [unrolled: 1-line block ×6, first 2 shown]
	.long	241058867                       ; 0xe5e4433
	.long	2075461870                      ; 0x7bb508ee
	.long	1819342070                      ; 0x6c70f4f6
	.long	619233032                       ; 0x24e8bf08
	.long	3164328001                      ; 0xbc9bd041
	.long	4280892071                      ; 0xff293aa7
	.long	4219074185                      ; 0xfb79f689
	.long	2719764611                      ; 0xa21c5083
	.long	3827656652                      ; 0xe42567cc
	.long	4062556527                      ; 0xf225b16f
	.long	621515766                       ; 0x250b93f6
	.long	2542375627                      ; 0x978992cb
	.long	3901998596                      ; 0xe893c604
	.long	2295087430                      ; 0x88cc4146
	.long	2880672054                      ; 0xabb39136
	;; [unrolled: 7-line block ×3, first 2 shown]
	.long	3775306719                      ; 0xe1069bdf
	.long	2212887565                      ; 0x83e5fc0d
	;; [unrolled: 1-line block ×11, first 2 shown]
	.long	262511310                       ; 0xfa59ace
	.long	4151907455                      ; 0xf779147f
	.long	924716723                       ; 0x371e0eb3
	.long	3298769960                      ; 0xc49f3c28
	.long	2065938273                      ; 0x7b23b761
	;; [unrolled: 1-line block ×3, first 2 shown]
	.long	122636766                       ; 0x74f49de
	.long	2164055077                      ; 0x80fcdc25
	.long	1000638739                      ; 0x3ba48913
	;; [unrolled: 1-line block ×8, first 2 shown]
	.long	832931652                       ; 0x31a58744
	.long	452359900                       ; 0x1af676dc
	;; [unrolled: 1-line block ×3, first 2 shown]
	.long	3312648046                      ; 0xc572ff6e
	.long	1059435047                      ; 0x3f25b227
	.long	1489639114                      ; 0x58ca16ca
	.long	3647631796                      ; 0xd96a71b4
	.long	417952902                       ; 0x18e97486
	.long	731020350                       ; 0x2b927c3e
	.long	2847472725                      ; 0xa9b8fc55
	.long	2779076784                      ; 0xa5a558b0
	;; [unrolled: 1-line block ×3, first 2 shown]
	.long	487600023                       ; 0x1d102f97
	.long	2925909449                      ; 0xae65d5c9
	.long	3997011591                      ; 0xee3d8e87
	;; [unrolled: 1-line block ×3, first 2 shown]
	.long	967300591                       ; 0x39a7d5ef
	.long	2310856069                      ; 0x89bcdd85
	.long	684710043                       ; 0x28cfd89b
	.long	811911286                       ; 0x3064c876
	.long	4174732177                      ; 0xf8d55b91
	.long	1010656728                      ; 0x3c3d65d8
	.long	702780279                       ; 0x29e39377
	.long	920081774                       ; 0x36d7556e
	.long	1578296057                      ; 0x5e12e2f9
	.long	944734808                       ; 0x384f8258
	.long	2884038169                      ; 0xabe6ee19
	.long	2885919611                      ; 0xac03a37b
	;; [unrolled: 1-line block ×5, first 2 shown]
	.long	656143887                       ; 0x271bf60f
	.long	426108406                       ; 0x1965e5f6
	.long	2166202683                      ; 0x811da13b
	.long	991797657                       ; 0x3b1da199
	.long	706498590                       ; 0x2a1c501e
	.long	561168186                       ; 0x2172bf3a
	.long	1144619335                      ; 0x44398147
	.long	3136206425                      ; 0xbaeeb659
	;; [unrolled: 1-line block ×3, first 2 shown]
	.long	651444872                       ; 0x26d44288
	.long	2348224675                      ; 0x8bf710a3
	.long	1684848433                      ; 0x646cbf31
	;; [unrolled: 1-line block ×14, first 2 shown]
	.long	637811069                       ; 0x2604397d
	.long	12802085                        ; 0xc35825
	.long	3456408080                      ; 0xce049a10
	.long	166617386                       ; 0x9ee612a
	.long	1764224523                      ; 0x6927ee0b
	.long	4016338923                      ; 0xef6477eb
	;; [unrolled: 1-line block ×5, first 2 shown]
	.long	373730087                       ; 0x1646ab27
	.long	3013524828                      ; 0xb39ebd5c
	.long	242949418                       ; 0xe7b1d2a
	.long	3443491410                      ; 0xcd3f8252
	.long	3671816408                      ; 0xdadb78d8
	.long	2391000148                      ; 0x8e83c454
	.long	3964107377                      ; 0xec477a71
	.long	716535366                       ; 0x2ab57646
	.long	1884597979                      ; 0x7054aedb
	.long	3917515811                      ; 0xe9808c23
	;; [unrolled: 1-line block ×8, first 2 shown]
	.long	884116165                       ; 0x34b28ac5
	.long	814992460                       ; 0x3093cc4c
	.long	1069506245                      ; 0x3fbf5ec5
	.long	3797556389                      ; 0xe25a1ca5
	.long	838088473                       ; 0x31f43719
	.long	2279863068                      ; 0x87e3f31c
	.long	1002637017                      ; 0x3bc306d9
	;; [unrolled: 1-line block ×3, first 2 shown]
	.long	644478743                       ; 0x2669f717
	.long	4138151954                      ; 0xf6a73012
	.long	4030442072                      ; 0xf03baa58
	.long	297710349                       ; 0x11beb30d
	.long	3507828614                      ; 0xd1153786
	.long	1403493362                      ; 0x53a79bf2
	;; [unrolled: 1-line block ×3, first 2 shown]
	.long	227377796                       ; 0xd8d8284
	.long	388148240                       ; 0x1722ac10
	.long	2760904473                      ; 0xa4900f19
	.long	352998924                       ; 0x150a560c
	.long	1603734504                      ; 0x5f970be8
	.long	1528807885                      ; 0x5b1fc1cd
	;; [unrolled: 1-line block ×3, first 2 shown]
	.long	737730350                       ; 0x2bf8df2e
	.long	2761342715                      ; 0xa496befb
	.long	809367801                       ; 0x303df8f9
	.long	1667936422                      ; 0x636ab0a6
	.long	1510238771                      ; 0x5a046a33
	;; [unrolled: 1-line block ×4, first 2 shown]
	.long	647580587                       ; 0x26994bab
	.long	1460988169                      ; 0x5714e909
	.long	3944640945                      ; 0xeb1e71b1
	;; [unrolled: 1-line block ×10, first 2 shown]
	.long	692294537                       ; 0x29439389
	.long	3148362914                      ; 0xbba834a2
	.long	3371415765                      ; 0xc8f3b8d5
	;; [unrolled: 1-line block ×3, first 2 shown]
	.long	706771848                       ; 0x2a207b88
	.long	3734467362                      ; 0xde977322
	.long	2768750385                      ; 0xa507c731
	;; [unrolled: 1-line block ×6, first 2 shown]
	.long	592595530                       ; 0x23524a4a
	.long	1685341001                      ; 0x64744349
	.long	3352323357                      ; 0xc7d0651d
	;; [unrolled: 1-line block ×8, first 2 shown]
	.long	565106475                       ; 0x21aed72b
	.long	327014810                       ; 0x137dd99a
	;; [unrolled: 1-line block ×3, first 2 shown]
	.long	3262918351                      ; 0xc27c2ecf
	.long	915509292                       ; 0x3691902c
	.long	397356303                       ; 0x17af2d0f
	.long	3248246752                      ; 0xc19c4fe0
	.long	1122821778                      ; 0x42ece692
	;; [unrolled: 1-line block ×6, first 2 shown]
	.long	86888382                        ; 0x52dcfbe
	.long	2789587372                      ; 0xa645b9ac
	.long	850847993                       ; 0x32b6e8f9
	.long	1794523220                      ; 0x6af64054
	.long	577288126                       ; 0x2268b7be
	;; [unrolled: 2-line block ×3, first 2 shown]
	.long	2601642298                      ; 0x9b11e93a
	.long	1469035973                      ; 0x578fb5c5
	;; [unrolled: 1-line block ×4, first 2 shown]
	.long	633292505                       ; 0x25bf46d9
	.long	756260381                       ; 0x2d139e1d
	.long	41782389                        ; 0x27d8c75
	.long	226724724                       ; 0xd838b74
	.long	3633968708                      ; 0xd899f644
	.long	1695315503                      ; 0x650c762f
	;; [unrolled: 1-line block ×4, first 2 shown]
	.long	823108172                       ; 0x310fa24c
	.long	3609336496                      ; 0xd7221ab0
	.long	3422558797                      ; 0xcc001a4d
	;; [unrolled: 1-line block ×3, first 2 shown]
	.long	564221408                       ; 0x21a155e0
	.long	591845835                       ; 0x2346d9cb
	.long	2498463433                      ; 0x94eb86c9
	.long	3573926554                      ; 0xd505ca9a
	;; [unrolled: 1-line block ×8, first 2 shown]
	.long	56968669                        ; 0x36545dd
	.long	1234765864                      ; 0x49990828
	.long	2456093821                      ; 0x9265047d
	;; [unrolled: 1-line block ×6, first 2 shown]
	.long	628000231                       ; 0x256e85e7
	.long	745509757                       ; 0x2c6f937d
	.long	4143543278                      ; 0xf6f973ee
	.long	1941480444                      ; 0x73b8a3fc
	;; [unrolled: 1-line block ×7, first 2 shown]
	.long	651444872                       ; 0x26d44288
	.long	2348224675                      ; 0x8bf710a3
	.long	1684848433                      ; 0x646cbf31
	;; [unrolled: 1-line block ×12, first 2 shown]
	.long	461466951                       ; 0x1b816d47
	.long	1313208797                      ; 0x4e45f9dd
	.long	637811069                       ; 0x2604397d
	.long	12802085                        ; 0xc35825
	.long	3456408080                      ; 0xce049a10
	.long	3444149988                      ; 0xcd498ee4
	;; [unrolled: 1-line block ×7, first 2 shown]
	.long	373730087                       ; 0x1646ab27
	.long	3013524828                      ; 0xb39ebd5c
	.long	242949418                       ; 0xe7b1d2a
	.long	3443491410                      ; 0xcd3f8252
	.long	2740782133                      ; 0xa35d0435
	;; [unrolled: 1-line block ×4, first 2 shown]
	.long	716535366                       ; 0x2ab57646
	.long	1884597979                      ; 0x7054aedb
	.long	3161911677                      ; 0xbc76f17d
	;; [unrolled: 1-line block ×8, first 2 shown]
	.long	884116165                       ; 0x34b28ac5
	.long	814992460                       ; 0x3093cc4c
	.long	1069506245                      ; 0x3fbf5ec5
	.long	1053106195                      ; 0x3ec52013
	.long	838088473                       ; 0x31f43719
	.long	2279863068                      ; 0x87e3f31c
	.long	1002637017                      ; 0x3bc306d9
	;; [unrolled: 1-line block ×6, first 2 shown]
	.long	297710349                       ; 0x11beb30d
	.long	3507828614                      ; 0xd1153786
	.long	2328331779                      ; 0x8ac78603
	;; [unrolled: 1-line block ×3, first 2 shown]
	.long	227377796                       ; 0xd8d8284
	.long	388148240                       ; 0x1722ac10
	.long	2760904473                      ; 0xa4900f19
	.long	3654577129                      ; 0xd9d46be9
	;; [unrolled: 1-line block ×5, first 2 shown]
	.long	737730350                       ; 0x2bf8df2e
	.long	2134741424                      ; 0x7f3d91b0
	.long	809367801                       ; 0x303df8f9
	.long	1667936422                      ; 0x636ab0a6
	.long	1510238771                      ; 0x5a046a33
	;; [unrolled: 1-line block ×4, first 2 shown]
	.long	647580587                       ; 0x26994bab
	.long	1460988169                      ; 0x5714e909
	.long	3944640945                      ; 0xeb1e71b1
	;; [unrolled: 1-line block ×10, first 2 shown]
	.long	692294537                       ; 0x29439389
	.long	3148362914                      ; 0xbba834a2
	.long	3371415765                      ; 0xc8f3b8d5
	;; [unrolled: 1-line block ×3, first 2 shown]
	.long	706771848                       ; 0x2a207b88
	.long	3734467362                      ; 0xde977322
	.long	2768750385                      ; 0xa507c731
	;; [unrolled: 1-line block ×6, first 2 shown]
	.long	592595530                       ; 0x23524a4a
	.long	1685341001                      ; 0x64744349
	.long	3121493408                      ; 0xba0e35a0
	;; [unrolled: 1-line block ×8, first 2 shown]
	.long	565106475                       ; 0x21aed72b
	.long	327014810                       ; 0x137dd99a
	;; [unrolled: 1-line block ×3, first 2 shown]
	.long	1278935671                      ; 0x4c3b0277
	.long	915509292                       ; 0x3691902c
	.long	397356303                       ; 0x17af2d0f
	.long	3248246752                      ; 0xc19c4fe0
	.long	1122821778                      ; 0x42ece692
	;; [unrolled: 1-line block ×6, first 2 shown]
	.long	86888382                        ; 0x52dcfbe
	.long	3645735256                      ; 0xd94d8158
	.long	850847993                       ; 0x32b6e8f9
	.long	1794523220                      ; 0x6af64054
	.long	577288126                       ; 0x2268b7be
	.long	1996569530                      ; 0x77013bba
	.long	1126950                         ; 0x113226
	.long	2601642298                      ; 0x9b11e93a
	.long	1469035973                      ; 0x578fb5c5
	;; [unrolled: 1-line block ×5, first 2 shown]
	.long	756260381                       ; 0x2d139e1d
	.long	41782389                        ; 0x27d8c75
	.long	226724724                       ; 0xd838b74
	.long	3633968708                      ; 0xd899f644
	.long	738274780                       ; 0x2c012ddc
	.long	1846857904                      ; 0x6e14d0b0
	.long	3185630605                      ; 0xbde0dd8d
	.long	823108172                       ; 0x310fa24c
	.long	3609336496                      ; 0xd7221ab0
	.long	3371270228                      ; 0xc8f18054
	;; [unrolled: 1-line block ×3, first 2 shown]
	.long	564221408                       ; 0x21a155e0
	.long	591845835                       ; 0x2346d9cb
	.long	2498463433                      ; 0x94eb86c9
	.long	4157618574                      ; 0xf7d0398e
	;; [unrolled: 1-line block ×8, first 2 shown]
	.long	56968669                        ; 0x36545dd
	.long	1234765864                      ; 0x49990828
	.long	2456093821                      ; 0x9265047d
	;; [unrolled: 1-line block ×6, first 2 shown]
	.long	628000231                       ; 0x256e85e7
	.long	541676954                       ; 0x2049559a
	.long	4143543278                      ; 0xf6f973ee
	.long	1941480444                      ; 0x73b8a3fc
	;; [unrolled: 1-line block ×7, first 2 shown]
	.long	651444872                       ; 0x26d44288
	.long	2348224675                      ; 0x8bf710a3
	.long	47991343                        ; 0x2dc4a2f
	.long	3748890341                      ; 0xdf7386e5
	.long	3413467790                      ; 0xcb75628e
	;; [unrolled: 1-line block ×10, first 2 shown]
	.long	461466951                       ; 0x1b816d47
	.long	1313208797                      ; 0x4e45f9dd
	.long	637811069                       ; 0x2604397d
	.long	12802085                        ; 0xc35825
	.long	982676468                       ; 0x3a9273f4
	.long	3444149988                      ; 0xcd498ee4
	.long	1764224523                      ; 0x6927ee0b
	;; [unrolled: 1-line block ×4, first 2 shown]
	.long	451503008                       ; 0x1ae963a0
	.long	2594402002                      ; 0x9aa36ed2
	.long	373730087                       ; 0x1646ab27
	.long	3013524828                      ; 0xb39ebd5c
	;; [unrolled: 2-line block ×3, first 2 shown]
	.long	2740782133                      ; 0xa35d0435
	.long	2391000148                      ; 0x8e83c454
	;; [unrolled: 1-line block ×3, first 2 shown]
	.long	716535366                       ; 0x2ab57646
	.long	731470002                       ; 0x2b9958b2
	.long	3161911677                      ; 0xbc76f17d
	.long	3441985401                      ; 0xcd288779
	;; [unrolled: 1-line block ×4, first 2 shown]
	.long	44456710                        ; 0x2a65b06
	.long	3623045141                      ; 0xd7f34815
	.long	1873516415                      ; 0x6fab977f
	.long	884116165                       ; 0x34b28ac5
	.long	814992460                       ; 0x3093cc4c
	.long	4004771121                      ; 0xeeb3f531
	.long	1053106195                      ; 0x3ec52013
	.long	838088473                       ; 0x31f43719
	.long	2279863068                      ; 0x87e3f31c
	.long	1002637017                      ; 0x3bc306d9
	;; [unrolled: 1-line block ×6, first 2 shown]
	.long	297710349                       ; 0x11beb30d
	.long	2570695340                      ; 0x9939b2ac
	.long	2328331779                      ; 0x8ac78603
	;; [unrolled: 1-line block ×3, first 2 shown]
	.long	227377796                       ; 0xd8d8284
	.long	388148240                       ; 0x1722ac10
	.long	3570998746                      ; 0xd4d91dda
	.long	3654577129                      ; 0xd9d46be9
	;; [unrolled: 1-line block ×5, first 2 shown]
	.long	188017185                       ; 0xb34ea21
	.long	2134741424                      ; 0x7f3d91b0
	.long	809367801                       ; 0x303df8f9
	.long	1667936422                      ; 0x636ab0a6
	.long	1510238771                      ; 0x5a046a33
	;; [unrolled: 1-line block ×4, first 2 shown]
	.long	647580587                       ; 0x26994bab
	.long	1460988169                      ; 0x5714e909
	.long	3944640945                      ; 0xeb1e71b1
	;; [unrolled: 1-line block ×10, first 2 shown]
	.long	692294537                       ; 0x29439389
	.long	3148362914                      ; 0xbba834a2
	.long	1645995464                      ; 0x621be5c8
	;; [unrolled: 1-line block ×3, first 2 shown]
	.long	706771848                       ; 0x2a207b88
	.long	3734467362                      ; 0xde977322
	.long	2768750385                      ; 0xa507c731
	.long	670964862                       ; 0x27fe1c7e
	.long	1337146928                      ; 0x4fb33e30
	.long	1449841372                      ; 0x566ad2dc
	;; [unrolled: 1-line block ×3, first 2 shown]
	.long	592595530                       ; 0x23524a4a
	.long	4204421245                      ; 0xfa9a607d
	.long	3121493408                      ; 0xba0e35a0
	;; [unrolled: 1-line block ×8, first 2 shown]
	.long	565106475                       ; 0x21aed72b
	.long	327014810                       ; 0x137dd99a
	.long	2716443687                      ; 0xa1e9a427
	.long	1278935671                      ; 0x4c3b0277
	.long	915509292                       ; 0x3691902c
	.long	397356303                       ; 0x17af2d0f
	.long	3248246752                      ; 0xc19c4fe0
	.long	204830047                       ; 0xc35755f
	.long	1086107506                      ; 0x40bcaf72
	.long	1795464380                      ; 0x6b049cbc
	;; [unrolled: 1-line block ×4, first 2 shown]
	.long	662578255                       ; 0x277e244f
	.long	3645735256                      ; 0xd94d8158
	.long	850847993                       ; 0x32b6e8f9
	.long	1794523220                      ; 0x6af64054
	;; [unrolled: 2-line block ×3, first 2 shown]
	.long	1126950                         ; 0x113226
	.long	2601642298                      ; 0x9b11e93a
	.long	1469035973                      ; 0x578fb5c5
	;; [unrolled: 1-line block ×3, first 2 shown]
	.long	92392213                        ; 0x581cb15
	.long	3668777652                      ; 0xdaad1ab4
	.long	756260381                       ; 0x2d139e1d
	.long	41782389                        ; 0x27d8c75
	.long	226724724                       ; 0xd838b74
	.long	1123105466                      ; 0x42f13aba
	.long	738274780                       ; 0x2c012ddc
	.long	1846857904                      ; 0x6e14d0b0
	.long	3185630605                      ; 0xbde0dd8d
	.long	823108172                       ; 0x310fa24c
	.long	2880110296                      ; 0xabaafed8
	.long	3371270228                      ; 0xc8f18054
	;; [unrolled: 1-line block ×3, first 2 shown]
	.long	564221408                       ; 0x21a155e0
	.long	591845835                       ; 0x2346d9cb
	.long	2356214088                      ; 0x8c70f948
	.long	4157618574                      ; 0xf7d0398e
	;; [unrolled: 1-line block ×8, first 2 shown]
	.long	56968669                        ; 0x36545dd
	.long	1234765864                      ; 0x49990828
	.long	3166457679                      ; 0xbcbc4f4f
	;; [unrolled: 1-line block ×6, first 2 shown]
	.long	496099322                       ; 0x1d91dffa
	.long	541676954                       ; 0x2049559a
	.long	4143543278                      ; 0xf6f973ee
	.long	1941480444                      ; 0x73b8a3fc
	;; [unrolled: 1-line block ×7, first 2 shown]
	.long	651444872                       ; 0x26d44288
	.long	1131603264                      ; 0x4372e540
	.long	47991343                        ; 0x2dc4a2f
	.long	3748890341                      ; 0xdf7386e5
	.long	3413467790                      ; 0xcb75628e
	;; [unrolled: 1-line block ×10, first 2 shown]
	.long	461466951                       ; 0x1b816d47
	.long	1313208797                      ; 0x4e45f9dd
	.long	637811069                       ; 0x2604397d
	.long	2744898822                      ; 0xa39bd506
	;; [unrolled: 2-line block ×3, first 2 shown]
	.long	1764224523                      ; 0x6927ee0b
	.long	4016338923                      ; 0xef6477eb
	;; [unrolled: 1-line block ×3, first 2 shown]
	.long	451503008                       ; 0x1ae963a0
	.long	2594402002                      ; 0x9aa36ed2
	.long	373730087                       ; 0x1646ab27
	.long	3013524828                      ; 0xb39ebd5c
	.long	3442521115                      ; 0xcd30b41b
	;; [unrolled: 1-line block ×7, first 2 shown]
	.long	731470002                       ; 0x2b9958b2
	.long	3161911677                      ; 0xbc76f17d
	.long	3441985401                      ; 0xcd288779
	;; [unrolled: 1-line block ×4, first 2 shown]
	.long	44456710                        ; 0x2a65b06
	.long	3623045141                      ; 0xd7f34815
	.long	1873516415                      ; 0x6fab977f
	.long	884116165                       ; 0x34b28ac5
	.long	2550700713                      ; 0x98089aa9
	.long	4004771121                      ; 0xeeb3f531
	;; [unrolled: 1-line block ×3, first 2 shown]
	.long	838088473                       ; 0x31f43719
	.long	2279863068                      ; 0x87e3f31c
	.long	1296332348                      ; 0x4d44763c
	;; [unrolled: 1-line block ×10, first 2 shown]
	.long	227377796                       ; 0xd8d8284
	.long	3887816270                      ; 0xe7bb5e4e
	.long	3570998746                      ; 0xd4d91dda
	;; [unrolled: 1-line block ×6, first 2 shown]
	.long	188017185                       ; 0xb34ea21
	.long	2134741424                      ; 0x7f3d91b0
	.long	809367801                       ; 0x303df8f9
	.long	1667936422                      ; 0x636ab0a6
	.long	1358744245                      ; 0x50fccab5
	;; [unrolled: 1-line block ×4, first 2 shown]
	.long	647580587                       ; 0x26994bab
	.long	1460988169                      ; 0x5714e909
	.long	2318828416                      ; 0x8a368380
	;; [unrolled: 1-line block ×6, first 2 shown]
	.long	49464436                        ; 0x2f2c474
	.long	2674694926                      ; 0x9f6c9b0e
	.long	2404530503                      ; 0x8f523947
	;; [unrolled: 1-line block ×3, first 2 shown]
	.long	692294537                       ; 0x29439389
	.long	1803418945                      ; 0x6b7dfd41
	.long	1645995464                      ; 0x621be5c8
	;; [unrolled: 1-line block ×3, first 2 shown]
	.long	706771848                       ; 0x2a207b88
	.long	3734467362                      ; 0xde977322
	.long	2407932841                      ; 0x8f8623a9
	.long	670964862                       ; 0x27fe1c7e
	.long	1337146928                      ; 0x4fb33e30
	.long	1449841372                      ; 0x566ad2dc
	;; [unrolled: 1-line block ×12, first 2 shown]
	.long	565106475                       ; 0x21aed72b
	.long	2063548817                      ; 0x7aff4191
	.long	2716443687                      ; 0xa1e9a427
	;; [unrolled: 1-line block ×3, first 2 shown]
	.long	915509292                       ; 0x3691902c
	.long	397356303                       ; 0x17af2d0f
	.long	1049916999                      ; 0x3e947647
	.long	204830047                       ; 0xc35755f
	.long	1086107506                      ; 0x40bcaf72
	.long	1795464380                      ; 0x6b049cbc
	;; [unrolled: 1-line block ×4, first 2 shown]
	.long	662578255                       ; 0x277e244f
	.long	3645735256                      ; 0xd94d8158
	.long	850847993                       ; 0x32b6e8f9
	.long	1794523220                      ; 0x6af64054
	.long	2943700388                      ; 0xaf754da4
	;; [unrolled: 1-line block ×3, first 2 shown]
	.long	1126950                         ; 0x113226
	.long	2601642298                      ; 0x9b11e93a
	.long	1469035973                      ; 0x578fb5c5
	.long	535075238                       ; 0x1fe499a6
	.long	92392213                        ; 0x581cb15
	.long	3668777652                      ; 0xdaad1ab4
	.long	756260381                       ; 0x2d139e1d
	.long	41782389                        ; 0x27d8c75
	.long	1043025574                      ; 0x3e2b4ea6
	.long	1123105466                      ; 0x42f13aba
	.long	738274780                       ; 0x2c012ddc
	.long	1846857904                      ; 0x6e14d0b0
	.long	3185630605                      ; 0xbde0dd8d
	;; [unrolled: 1-line block ×6, first 2 shown]
	.long	564221408                       ; 0x21a155e0
	.long	2528599862                      ; 0x96b75f36
	.long	2356214088                      ; 0x8c70f948
	;; [unrolled: 1-line block ×5, first 2 shown]
	.long	592094844                       ; 0x234aa67c
	.long	4266261353                      ; 0xfe49fb69
	.long	3844986377                      ; 0xe52dd609
	;; [unrolled: 1-line block ×3, first 2 shown]
	.long	56968669                        ; 0x36545dd
	.long	629503707                       ; 0x258576db
	.long	3166457679                      ; 0xbcbc4f4f
	.long	1001761927                      ; 0x3bb5ac87
	;; [unrolled: 1-line block ×5, first 2 shown]
	.long	496099322                       ; 0x1d91dffa
	.long	541676954                       ; 0x2049559a
	.long	4143543278                      ; 0xf6f973ee
	.long	1941480444                      ; 0x73b8a3fc
	;; [unrolled: 1-line block ×3, first 2 shown]
	.long	31832949                        ; 0x1e5bb75
	.long	3805791401                      ; 0xe2d7c4a9
	.long	4056283801                      ; 0xf1c5fa99
	.long	242812250                       ; 0xe79055a
	.long	4072988068                      ; 0xf2c4dda4
	.long	2316479446                      ; 0x8a12abd6
	;; [unrolled: 1-line block ×7, first 2 shown]
	.long	342600216                       ; 0x146baa18
	.long	98745656                        ; 0x5e2bd38
	.long	2541799209                      ; 0x9780c729
	.long	926067404                       ; 0x3732aacc
	.long	2733213159                      ; 0xa2e985e7
	.long	3163537903                      ; 0xbc8fc1ef
	;; [unrolled: 1-line block ×7, first 2 shown]
	.long	690503808                       ; 0x29284080
	.long	3799637505                      ; 0xe279de01
	.long	1000641330                      ; 0x3ba49332
	.long	242588257                       ; 0xe759a61
	.long	3657834529                      ; 0xda062021
	.long	824791208                       ; 0x312950a8
	.long	2529299371                      ; 0x96c20bab
	.long	4081898575                      ; 0xf34cd44f
	;; [unrolled: 1-line block ×8, first 2 shown]
	.long	31780198                        ; 0x1e4ed66
	.long	2511451445                      ; 0x95b1b535
	.long	3102141340                      ; 0xb8e6eb9c
	.long	861489797                       ; 0x33594a85
	.long	105854693                       ; 0x64f36e5
	.long	70927387                        ; 0x43a441b
	.long	2725671050                      ; 0xa276708a
	.long	688282241                       ; 0x29065a81
	.long	2622257646                      ; 0x9c4c79ee
	.long	3466254816                      ; 0xce9ad9e0
	;; [unrolled: 1-line block ×9, first 2 shown]
	.long	400926709                       ; 0x17e5a7f5
	.long	523449509                       ; 0x1f3334a5
	.long	2891602783                      ; 0xac5a5b5f
	.long	673425710                       ; 0x2823a92e
	.long	3766475216                      ; 0xe07fd9d0
	.long	2319843954                      ; 0x8a460272
	;; [unrolled: 1-line block ×3, first 2 shown]
	.long	13838840                        ; 0xd329f8
	.long	1908374660                      ; 0x71bf7c84
	.long	3839606132                      ; 0xe4dbbd74
	;; [unrolled: 1-line block ×6, first 2 shown]
	.long	3217619                         ; 0x3118d3
	.long	1284482371                      ; 0x4c8fa543
	.long	2020138237                      ; 0x7868dcfd
	;; [unrolled: 1-line block ×6, first 2 shown]
	.long	726494474                       ; 0x2b4d6d0a
	.long	490750173                       ; 0x1d4040dd
	.long	1117517565                      ; 0x429bf6fd
	.long	3498786968                      ; 0xd08b4098
	.long	2163060528                      ; 0x80edaf30
	.long	696718831                       ; 0x298715ef
	.long	2780121254                      ; 0xa5b548a6
	.long	1286646297                      ; 0x4cb0aa19
	.long	1594539045                      ; 0x5f0abc25
	;; [unrolled: 4-line block ×3, first 2 shown]
	.long	2088977769                      ; 0x7c834569
	.long	2737453188                      ; 0xa32a3884
	;; [unrolled: 1-line block ×5, first 2 shown]
	.long	429293789                       ; 0x199680dd
	.long	426390687                       ; 0x196a349f
	.long	3158027863                      ; 0xbc3bae57
	.long	2601897382                      ; 0x9b15cda6
	.long	1546855515                      ; 0x5c33245b
	.long	4258208908                      ; 0xfdcf1c8c
	.long	3691263847                      ; 0xdc043767
	.long	2394986813                      ; 0x8ec0993d
	.long	1986623921                      ; 0x766979b1
	.long	2632462203                      ; 0x9ce82f7b
	.long	3551311099                      ; 0xd3acb4fb
	.long	3309482741                      ; 0xc542b2f5
	.long	2632571927                      ; 0x9ce9dc17
	.long	1200010240                      ; 0x4786b400
	.long	554555739                       ; 0x210dd95b
	.long	4119397989                      ; 0xf5890665
	.long	622818813                       ; 0x251f75fd
	.long	3116222066                      ; 0xb9bdc672
	.long	1801867255                      ; 0x6b664ff7
	;; [unrolled: 1-line block ×4, first 2 shown]
	.long	733457482                       ; 0x2bb7ac4a
	.long	1680421668                      ; 0x64293324
	.long	1035766144                      ; 0x3dbc8980
	.long	468847991                       ; 0x1bf20d77
	.long	3606474156                      ; 0xd6f66dac
	.long	2612692123                      ; 0x9bba849b
	.long	730556693                       ; 0x2b8b6915
	.long	859096521                       ; 0x3334c5c9
	.long	4005878655                      ; 0xeec4db7f
	.long	1138273887                      ; 0x43d8ae5f
	.long	2182363629                      ; 0x821439ed
	.long	2710579590                      ; 0xa1902986
	.long	3345140092                      ; 0xc762c97c
	.long	2562710857                      ; 0x98bfdd49
	.long	3859276724                      ; 0xe607e3b4
	.long	2318176233                      ; 0x8a2c8fe9
	.long	3964665794                      ; 0xec4fffc2
	.long	3295219265                      ; 0xc4690e41
	.long	3037789445                      ; 0xb510fd05
	.long	371545704                       ; 0x16255668
	.long	3434130670                      ; 0xccb0acee
	.long	3686032092                      ; 0xdbb462dc
	.long	19964088                        ; 0x130a0b8
	.long	340386179                       ; 0x1449e183
	.long	2147090894                      ; 0x7ffa01ce
	.long	1446742483                      ; 0x563b89d3
	;; [unrolled: 1-line block ×3, first 2 shown]
	.long	561888846                       ; 0x217dbe4e
	.long	2903328518                      ; 0xad0d4706
	.long	1524465288                      ; 0x5add7e88
	.long	360120037                       ; 0x1576fee5
	.long	2031515996                      ; 0x7916795c
	.long	1516035872                      ; 0x5a5cdf20
	;; [unrolled: 1-line block ×4, first 2 shown]
	.long	984159948                       ; 0x3aa916cc
	.long	369999653                       ; 0x160dbf25
	;; [unrolled: 1-line block ×3, first 2 shown]
	.long	2402584241                      ; 0x8f3486b1
	.long	3028363830                      ; 0xb4812a36
	.long	252580667                       ; 0xf0e133b
	.long	480470405                       ; 0x1ca36585
	.long	3201548259                      ; 0xbed3bfe3
	.long	2739036185                      ; 0xa3426019
	;; [unrolled: 1-line block ×13, first 2 shown]
	.long	498636511                       ; 0x1db896df
	.long	2292804841                      ; 0x88a96ce9
	.long	1480836858                      ; 0x5843c6fa
	;; [unrolled: 1-line block ×3, first 2 shown]
	.long	196495965                       ; 0xbb64a5d
	.long	2168559184                      ; 0x81419650
	.long	3910150715                      ; 0xe9102a3b
	.long	320076735                       ; 0x1313fbbf
	.long	3144753899                      ; 0xbb7122eb
	.long	3199094529                      ; 0xbeae4f01
	.long	1165806050                      ; 0x457cc9e2
	.long	728308199                       ; 0x2b6919e7
	.long	2322528104                      ; 0x8a6ef768
	.long	2891334400                      ; 0xac564300
	.long	561853019                       ; 0x217d325b
	.long	4161870615                      ; 0xf8111b17
	.long	1348321971                      ; 0x505dc2b3
	;; [unrolled: 1-line block ×11, first 2 shown]
	.long	478174598                       ; 0x1c805d86
	.long	1087303780                      ; 0x40cef064
	.long	471631659                       ; 0x1c1c872b
	.long	2599553643                      ; 0x9af20a6b
	.long	791527994                       ; 0x2f2dc23a
	.long	563537164                       ; 0x2196e50c
	.long	1238109907                      ; 0x49cc0ed3
	.long	3218421602                      ; 0xbfd53762
	.long	133222502                       ; 0x7f0d066
	.long	4182363220                      ; 0xf949cc54
	.long	305688802                       ; 0x123870e2
	.long	2666439314                      ; 0x9eeea292
	.long	2408520958                      ; 0x8f8f1cfe
	.long	787389550                       ; 0x2eee9c6e
	.long	4226450542                      ; 0xfbea846e
	.long	4107143646                      ; 0xf4ce09de
	;; [unrolled: 1-line block ×5, first 2 shown]
	.long	334267386                       ; 0x13ec83fa
	.long	3772035402                      ; 0xe0d4b14a
	.long	3436827662                      ; 0xccd9d40e
	;; [unrolled: 1-line block ×9, first 2 shown]
	.long	33647321                        ; 0x2016ad9
	.long	1121452997                      ; 0x42d803c5
	.long	507942677                       ; 0x1e469715
	.long	2542792587                      ; 0x978fef8b
	.long	351339975                       ; 0x14f105c7
	.long	1586639416                      ; 0x5e923238
	.long	1918003826                      ; 0x72526a72
	;; [unrolled: 1-line block ×4, first 2 shown]
	.long	606238275                       ; 0x24227643
	.long	1132105249                      ; 0x437a8e21
	.long	574593993                       ; 0x223f9bc9
	.long	2655425816                      ; 0x9e469518
	.long	1680556547                      ; 0x642b4203
	;; [unrolled: 1-line block ×4, first 2 shown]
	.long	90710116                        ; 0x5682064
	.long	4291431098                      ; 0xffca0aba
	.long	1899367028                      ; 0x71360a74
	;; [unrolled: 1-line block ×6, first 2 shown]
	.long	897753268                       ; 0x3582a0b4
	.long	1619454780                      ; 0x6086eb3c
	.long	938130143                       ; 0x37eabadf
	.long	1828916640                      ; 0x6d030da0
	.long	3620488958                      ; 0xd7cc46fe
	.long	1822437033                      ; 0x6ca02ea9
	.long	172584228                       ; 0xa496d24
	.long	1853048226                      ; 0x6e7345a2
	.long	3659288522                      ; 0xda1c4fca
	.long	3623450763                      ; 0xd7f9788b
	.long	1893292786                      ; 0x70d95af2
	.long	851522142                       ; 0x32c1325e
	.long	3411705687                      ; 0xcb5a7f57
	;; [unrolled: 5-line block ×3, first 2 shown]
	.long	2320209608                      ; 0x8a4b96c8
	.long	1777678953                      ; 0x69f53a69
	;; [unrolled: 1-line block ×4, first 2 shown]
	.long	252913914                       ; 0xf1328fa
	.long	3648685154                      ; 0xd97a8462
	.long	544382669                       ; 0x20729ecd
	.long	2631141468                      ; 0x9cd4085c
	.long	1524405364                      ; 0x5adc9474
	;; [unrolled: 1-line block ×3, first 2 shown]
	.long	580646927                       ; 0x229bf80f
	.long	2451560151                      ; 0x921fd6d7
	.long	181916967                       ; 0xad7d527
	.long	1426301928                      ; 0x5503a3e8
	.long	1652422182                      ; 0x627df626
	;; [unrolled: 1-line block ×3, first 2 shown]
	.long	176664750                       ; 0xa87b0ae
	.long	1582626255                      ; 0x5e54f5cf
	.long	1675120608                      ; 0x63d84fe0
	;; [unrolled: 1-line block ×5, first 2 shown]
	.long	419906507                       ; 0x190743cb
	.long	886861124                       ; 0x34dc6d44
	.long	1974832558                      ; 0x75b58dae
	.long	3157060904                      ; 0xbc2ced28
	.long	216000225                       ; 0xcdfe6e1
	.long	746978071                       ; 0x2c85fb17
	.long	1424984058                      ; 0x54ef87fa
	.long	1457979883                      ; 0x56e701eb
	.long	809822177                       ; 0x3044e7e1
	.long	3833178010                      ; 0xe479a79a
	.long	3926414726                      ; 0xea085586
	;; [unrolled: 1-line block ×7, first 2 shown]
	.long	548130303                       ; 0x20abcdff
	.long	1118013762                      ; 0x42a38942
	.long	1309103114                      ; 0x4e07540a
	;; [unrolled: 1-line block ×4, first 2 shown]
	.long	228947246                       ; 0xda5752e
	.long	2167410411                      ; 0x81300eeb
	.long	620496852                       ; 0x24fc07d4
	.long	2724112116                      ; 0xa25ea6f4
	;; [unrolled: 2-line block ×3, first 2 shown]
	.long	3085999115                      ; 0xb7f09c0b
	.long	2447267299                      ; 0x91de55e3
	;; [unrolled: 1-line block ×5, first 2 shown]
	.long	39711865                        ; 0x25df479
	.long	1076751044                      ; 0x402deac4
	.long	2546657140                      ; 0x97cae774
	;; [unrolled: 1-line block ×10, first 2 shown]
	.long	368199414                       ; 0x15f246f6
	.long	2292804841                      ; 0x88a96ce9
	.long	1480836858                      ; 0x5843c6fa
	;; [unrolled: 1-line block ×3, first 2 shown]
	.long	196495965                       ; 0xbb64a5d
	.long	3235583934                      ; 0xc0db17be
	.long	3910150715                      ; 0xe9102a3b
	.long	320076735                       ; 0x1313fbbf
	.long	3144753899                      ; 0xbb7122eb
	.long	3199094529                      ; 0xbeae4f01
	;; [unrolled: 1-line block ×3, first 2 shown]
	.long	728308199                       ; 0x2b6919e7
	.long	2322528104                      ; 0x8a6ef768
	.long	2891334400                      ; 0xac564300
	.long	561853019                       ; 0x217d325b
	.long	1515915224                      ; 0x5a5b07d8
	.long	1348321971                      ; 0x505dc2b3
	;; [unrolled: 1-line block ×5, first 2 shown]
	.long	15252704                        ; 0xe8bce0
	.long	3282469664                      ; 0xc3a68320
	.long	1866493654                      ; 0x6f406ed6
	;; [unrolled: 1-line block ×4, first 2 shown]
	.long	192355609                       ; 0xb771d19
	.long	478174598                       ; 0x1c805d86
	.long	1087303780                      ; 0x40cef064
	.long	471631659                       ; 0x1c1c872b
	.long	2599553643                      ; 0x9af20a6b
	.long	1725604263                      ; 0x66daa1a7
	.long	563537164                       ; 0x2196e50c
	.long	1238109907                      ; 0x49cc0ed3
	.long	3218421602                      ; 0xbfd53762
	.long	133222502                       ; 0x7f0d066
	.long	305098282                       ; 0x122f6e2a
	;; [unrolled: 1-line block ×3, first 2 shown]
	.long	2666439314                      ; 0x9eeea292
	.long	2408520958                      ; 0x8f8f1cfe
	.long	787389550                       ; 0x2eee9c6e
	.long	3195522899                      ; 0xbe77cf53
	.long	4107143646                      ; 0xf4ce09de
	;; [unrolled: 1-line block ×17, first 2 shown]
	.long	507942677                       ; 0x1e469715
	.long	2542792587                      ; 0x978fef8b
	.long	351339975                       ; 0x14f105c7
	.long	3599278861                      ; 0xd688a30d
	.long	1918003826                      ; 0x72526a72
	;; [unrolled: 1-line block ×4, first 2 shown]
	.long	606238275                       ; 0x24227643
	.long	446979745                       ; 0x1aa45ea1
	.long	574593993                       ; 0x223f9bc9
	.long	2655425816                      ; 0x9e469518
	.long	1680556547                      ; 0x642b4203
	;; [unrolled: 1-line block ×4, first 2 shown]
	.long	90710116                        ; 0x5682064
	.long	4291431098                      ; 0xffca0aba
	.long	1899367028                      ; 0x71360a74
	;; [unrolled: 1-line block ×6, first 2 shown]
	.long	897753268                       ; 0x3582a0b4
	.long	1619454780                      ; 0x6086eb3c
	.long	1429190743                      ; 0x552fb857
	;; [unrolled: 1-line block ×5, first 2 shown]
	.long	172584228                       ; 0xa496d24
	.long	2529855020                      ; 0x96ca862c
	.long	3659288522                      ; 0xda1c4fca
	.long	3623450763                      ; 0xd7f9788b
	.long	1893292786                      ; 0x70d95af2
	.long	851522142                       ; 0x32c1325e
	.long	1417935793                      ; 0x5483fbb1
	.long	4106341088                      ; 0xf4c1cae0
	.long	4109830348                      ; 0xf4f708cc
	.long	1193339049                      ; 0x4720e8a9
	;; [unrolled: 5-line block ×3, first 2 shown]
	.long	3856938396                      ; 0xe5e4359c
	.long	1813134786                      ; 0x6c123dc2
	;; [unrolled: 1-line block ×3, first 2 shown]
	.long	544382669                       ; 0x20729ecd
	.long	2631141468                      ; 0x9cd4085c
	.long	1524405364                      ; 0x5adc9474
	.long	687661410                       ; 0x28fce162
	.long	580646927                       ; 0x229bf80f
	.long	2451560151                      ; 0x921fd6d7
	.long	181916967                       ; 0xad7d527
	.long	1426301928                      ; 0x5503a3e8
	.long	1463347373                      ; 0x5738e8ad
	;; [unrolled: 1-line block ×3, first 2 shown]
	.long	176664750                       ; 0xa87b0ae
	.long	1582626255                      ; 0x5e54f5cf
	.long	1675120608                      ; 0x63d84fe0
	;; [unrolled: 1-line block ×5, first 2 shown]
	.long	419906507                       ; 0x190743cb
	.long	886861124                       ; 0x34dc6d44
	.long	4209699955                      ; 0xfaeaec73
	.long	3157060904                      ; 0xbc2ced28
	.long	216000225                       ; 0xcdfe6e1
	.long	746978071                       ; 0x2c85fb17
	.long	1424984058                      ; 0x54ef87fa
	.long	3063941448                      ; 0xb6a00948
	.long	809822177                       ; 0x3044e7e1
	.long	3833178010                      ; 0xe479a79a
	.long	3926414726                      ; 0xea085586
	.long	1423462846                      ; 0x54d851be
	.long	750559587                       ; 0x2cbca163
	.long	4067020014                      ; 0xf269ccee
	;; [unrolled: 4-line block ×3, first 2 shown]
	.long	1309103114                      ; 0x4e07540a
	.long	2227304261                      ; 0x84c1f745
	;; [unrolled: 1-line block ×3, first 2 shown]
	.long	228947246                       ; 0xda5752e
	.long	774411056                       ; 0x2e289330
	;; [unrolled: 1-line block ×3, first 2 shown]
	.long	2724112116                      ; 0xa25ea6f4
	.long	705259153                       ; 0x2a096691
	.long	3499686911                      ; 0xd098fbff
	.long	2486247387                      ; 0x94311fdb
	;; [unrolled: 1-line block ×6, first 2 shown]
	.long	54639263                        ; 0x341ba9f
	.long	1076751044                      ; 0x402deac4
	.long	2546657140                      ; 0x97cae774
	;; [unrolled: 1-line block ×9, first 2 shown]
	.long	452427847                       ; 0x1af78047
	.long	368199414                       ; 0x15f246f6
	.long	2292804841                      ; 0x88a96ce9
	.long	1480836858                      ; 0x5843c6fa
	;; [unrolled: 1-line block ×6, first 2 shown]
	.long	320076735                       ; 0x1313fbbf
	.long	3144753899                      ; 0xbb7122eb
	.long	895636897                       ; 0x356255a1
	.long	1374597050                      ; 0x51eeafba
	;; [unrolled: 2-line block ×3, first 2 shown]
	.long	2891334400                      ; 0xac564300
	.long	1871824871                      ; 0x6f91c7e7
	;; [unrolled: 1-line block ×7, first 2 shown]
	.long	15252704                        ; 0xe8bce0
	.long	3282469664                      ; 0xc3a68320
	.long	1866493654                      ; 0x6f406ed6
	;; [unrolled: 1-line block ×4, first 2 shown]
	.long	192355609                       ; 0xb771d19
	.long	478174598                       ; 0x1c805d86
	.long	1087303780                      ; 0x40cef064
	.long	471631659                       ; 0x1c1c872b
	.long	4230260400                      ; 0xfc24a6b0
	.long	1725604263                      ; 0x66daa1a7
	.long	563537164                       ; 0x2196e50c
	.long	1238109907                      ; 0x49cc0ed3
	.long	3218421602                      ; 0xbfd53762
	.long	960481514                       ; 0x393fc8ea
	.long	305098282                       ; 0x122f6e2a
	;; [unrolled: 1-line block ×3, first 2 shown]
	.long	2666439314                      ; 0x9eeea292
	.long	2408520958                      ; 0x8f8f1cfe
	.long	242741163                       ; 0xe77efab
	.long	3195522899                      ; 0xbe77cf53
	.long	4107143646                      ; 0xf4ce09de
	;; [unrolled: 1-line block ×9, first 2 shown]
	.long	545362965                       ; 0x20819415
	.long	1848198417                      ; 0x6e294511
	.long	4163192062                      ; 0xf82544fe
	;; [unrolled: 1-line block ×7, first 2 shown]
	.long	507942677                       ; 0x1e469715
	.long	2542792587                      ; 0x978fef8b
	.long	1948892535                      ; 0x7429bd77
	;; [unrolled: 1-line block ×7, first 2 shown]
	.long	446979745                       ; 0x1aa45ea1
	.long	574593993                       ; 0x223f9bc9
	.long	2655425816                      ; 0x9e469518
	.long	1680556547                      ; 0x642b4203
	.long	2986869736                      ; 0xb20803e8
	.long	3338512802                      ; 0xc6fda9a2
	.long	90710116                        ; 0x5682064
	.long	4291431098                      ; 0xffca0aba
	.long	1899367028                      ; 0x71360a74
	;; [unrolled: 1-line block ×6, first 2 shown]
	.long	897753268                       ; 0x3582a0b4
	.long	2061577225                      ; 0x7ae12c09
	.long	1429190743                      ; 0x552fb857
	;; [unrolled: 1-line block ×10, first 2 shown]
	.long	16446898                        ; 0xfaf5b2
	.long	1417935793                      ; 0x5483fbb1
	.long	4106341088                      ; 0xf4c1cae0
	;; [unrolled: 1-line block ×9, first 2 shown]
	.long	117861450                       ; 0x7066c4a
	.long	1813134786                      ; 0x6c123dc2
	.long	3648685154                      ; 0xd97a8462
	.long	544382669                       ; 0x20729ecd
	.long	2631141468                      ; 0x9cd4085c
	.long	1105253905                      ; 0x41e0d611
	.long	687661410                       ; 0x28fce162
	.long	580646927                       ; 0x229bf80f
	.long	2451560151                      ; 0x921fd6d7
	.long	181916967                       ; 0xad7d527
	.long	1605087684                      ; 0x5fabb1c4
	.long	1463347373                      ; 0x5738e8ad
	;; [unrolled: 1-line block ×3, first 2 shown]
	.long	176664750                       ; 0xa87b0ae
	.long	1582626255                      ; 0x5e54f5cf
	.long	1993431057                      ; 0x76d15811
	;; [unrolled: 1-line block ×5, first 2 shown]
	.long	419906507                       ; 0x190743cb
	.long	3219719670                      ; 0xbfe905f6
	.long	4209699955                      ; 0xfaeaec73
	.long	3157060904                      ; 0xbc2ced28
	.long	216000225                       ; 0xcdfe6e1
	.long	746978071                       ; 0x2c85fb17
	.long	3304126047                      ; 0xc4f0f65f
	.long	3063941448                      ; 0xb6a00948
	.long	809822177                       ; 0x3044e7e1
	.long	3833178010                      ; 0xe479a79a
	.long	3926414726                      ; 0xea085586
	.long	4061584738                      ; 0xf216dd62
	.long	750559587                       ; 0x2cbca163
	.long	4067020014                      ; 0xf269ccee
	;; [unrolled: 4-line block ×3, first 2 shown]
	.long	1309103114                      ; 0x4e07540a
	.long	2227304261                      ; 0x84c1f745
	;; [unrolled: 1-line block ×3, first 2 shown]
	.long	939664759                       ; 0x38022577
	.long	774411056                       ; 0x2e289330
	;; [unrolled: 1-line block ×3, first 2 shown]
	.long	2724112116                      ; 0xa25ea6f4
	.long	705259153                       ; 0x2a096691
	.long	176172666                       ; 0xa802e7a
	.long	2486247387                      ; 0x94311fdb
	.long	2447267299                      ; 0x91de55e3
	;; [unrolled: 1-line block ×4, first 2 shown]
	.long	300145620                       ; 0x11e3dbd4
	.long	54639263                        ; 0x341ba9f
	.long	1076751044                      ; 0x402deac4
	.long	2546657140                      ; 0x97cae774
	;; [unrolled: 1-line block ×3, first 2 shown]
	.long	188149161                       ; 0xb36eda9
	.long	1152150303                      ; 0x44ac6b1f
	.long	3857150586                      ; 0xe5e7727a
	;; [unrolled: 1-line block ×4, first 2 shown]
	.long	626100323                       ; 0x25518863
	.long	452427847                       ; 0x1af78047
	;; [unrolled: 1-line block ×3, first 2 shown]
	.long	2292804841                      ; 0x88a96ce9
	.long	1480836858                      ; 0x5843c6fa
	;; [unrolled: 1-line block ×6, first 2 shown]
	.long	320076735                       ; 0x1313fbbf
	.long	1715326239                      ; 0x663dcd1f
	.long	895636897                       ; 0x356255a1
	.long	1374597050                      ; 0x51eeafba
	.long	728308199                       ; 0x2b6919e7
	.long	2322528104                      ; 0x8a6ef768
	.long	2356051490                      ; 0x8c6e7e22
	.long	1871824871                      ; 0x6f91c7e7
	;; [unrolled: 1-line block ×5, first 2 shown]
	.long	243332180                       ; 0xe80f454
	.long	3170568098                      ; 0xbcfb07a2
	.long	15252704                        ; 0xe8bce0
	.long	3282469664                      ; 0xc3a68320
	.long	1866493654                      ; 0x6f406ed6
	;; [unrolled: 1-line block ×4, first 2 shown]
	.long	192355609                       ; 0xb771d19
	.long	478174598                       ; 0x1c805d86
	.long	1087303780                      ; 0x40cef064
	.long	3787911270                      ; 0xe1c6f066
	;; [unrolled: 1-line block ×4, first 2 shown]
	.long	563537164                       ; 0x2196e50c
	.long	1238109907                      ; 0x49cc0ed3
	.long	1147223471                      ; 0x44613daf
	.long	960481514                       ; 0x393fc8ea
	.long	305098282                       ; 0x122f6e2a
	;; [unrolled: 1-line block ×3, first 2 shown]
	.long	2666439314                      ; 0x9eeea292
	.long	1503870433                      ; 0x59a33de1
	.long	242741163                       ; 0xe77efab
	.long	3195522899                      ; 0xbe77cf53
	.long	4107143646                      ; 0xf4ce09de
	;; [unrolled: 1-line block ×9, first 2 shown]
	.long	545362965                       ; 0x20819415
	.long	1848198417                      ; 0x6e294511
	.long	4163192062                      ; 0xf82544fe
	.long	2921191805                      ; 0xae1dd97d
	.long	793561655                       ; 0x2f4cca37
	.long	1196775493                      ; 0x47555845
	.long	3474206203                      ; 0xcf142dfb
	.long	1121452997                      ; 0x42d803c5
	;; [unrolled: 4-line block ×3, first 2 shown]
	.long	1918003826                      ; 0x72526a72
	.long	2513357034                      ; 0x95cec8ea
	.long	3301940062                      ; 0xc4cf9b5e
	.long	4172793632                      ; 0xf8b7c720
	.long	446979745                       ; 0x1aa45ea1
	.long	574593993                       ; 0x223f9bc9
	.long	2655425816                      ; 0x9e469518
	.long	667233719                       ; 0x27c52db7
	.long	2986869736                      ; 0xb20803e8
	.long	3338512802                      ; 0xc6fda9a2
	.long	90710116                        ; 0x5682064
	.long	4291431098                      ; 0xffca0aba
	.long	2027122085                      ; 0x78d36da5
	;; [unrolled: 1-line block ×17, first 2 shown]
	.long	16446898                        ; 0xfaf5b2
	.long	1417935793                      ; 0x5483fbb1
	.long	4106341088                      ; 0xf4c1cae0
	;; [unrolled: 1-line block ×9, first 2 shown]
	.long	117861450                       ; 0x7066c4a
	.long	1813134786                      ; 0x6c123dc2
	.long	3648685154                      ; 0xd97a8462
	.long	544382669                       ; 0x20729ecd
	.long	3108229631                      ; 0xb943d1ff
	.long	1105253905                      ; 0x41e0d611
	.long	687661410                       ; 0x28fce162
	.long	580646927                       ; 0x229bf80f
	.long	2451560151                      ; 0x921fd6d7
	.long	1160575897                      ; 0x452cfb99
	;; [unrolled: 1-line block ×5, first 2 shown]
	.long	176664750                       ; 0xa87b0ae
	.long	1998534134                      ; 0x771f35f6
	.long	1993431057                      ; 0x76d15811
	;; [unrolled: 1-line block ×9, first 2 shown]
	.long	216000225                       ; 0xcdfe6e1
	.long	902956869                       ; 0x35d20745
	.long	3304126047                      ; 0xc4f0f65f
	.long	3063941448                      ; 0xb6a00948
	.long	809822177                       ; 0x3044e7e1
	.long	3833178010                      ; 0xe479a79a
	.long	815366736                       ; 0x30998250
	;; [unrolled: 2-line block ×3, first 2 shown]
	.long	4067020014                      ; 0xf269ccee
	.long	2881559869                      ; 0xabc11d3d
	.long	350775477                       ; 0x14e868b5
	.long	973425409                       ; 0x3a054b01
	.long	4056763004                      ; 0xf1cd4a7c
	.long	1309103114                      ; 0x4e07540a
	;; [unrolled: 1-line block ×4, first 2 shown]
	.long	939664759                       ; 0x38022577
	.long	774411056                       ; 0x2e289330
	;; [unrolled: 1-line block ×3, first 2 shown]
	.long	2724112116                      ; 0xa25ea6f4
	.long	3593903529                      ; 0xd6369da9
	.long	176172666                       ; 0xa802e7a
	.long	2486247387                      ; 0x94311fdb
	.long	2447267299                      ; 0x91de55e3
	;; [unrolled: 1-line block ×5, first 2 shown]
	.long	272699299                       ; 0x10410fa3
	.long	4113952664                      ; 0xf535ef98
	.long	1408743622                      ; 0x53f7b8c6
	;; [unrolled: 1-line block ×16, first 2 shown]
	.long	89761304                        ; 0x559a618
	.long	489201378                       ; 0x1d289ee2
	.long	1236489133                      ; 0x49b353ad
	.long	2774076159                      ; 0xa5590aff
	.long	822652970                       ; 0x3108b02a
	.long	1583752702                      ; 0x5e6625fe
	.long	1781766972                      ; 0x6a339b3c
	;; [unrolled: 1-line block ×9, first 2 shown]
	.long	704049384                       ; 0x29f6f0e8
	.long	3238382362                      ; 0xc105cb1a
	.long	2405156187                      ; 0x8f5bc55b
	;; [unrolled: 1-line block ×3, first 2 shown]
	.long	531907732                       ; 0x1fb44494
	.long	2240111412                      ; 0x85856334
	.long	4102445586                      ; 0xf4865a12
	.long	849739856                       ; 0x32a60050
	.long	3649572083                      ; 0xd9880cf3
	.long	3317634415                      ; 0xc5bf156f
	;; [unrolled: 1-line block ×5, first 2 shown]
	.long	648360156                       ; 0x26a530dc
	.long	1364897187                      ; 0x515aada3
	.long	289264571                       ; 0x113dd3bb
	.long	1625825195                      ; 0x60e81fab
	.long	1075970578                      ; 0x40220212
	;; [unrolled: 1-line block ×4, first 2 shown]
	.long	727038162                       ; 0x2b55b8d2
	.long	2824687935                      ; 0xa85d513f
	.long	3844230994                      ; 0xe5224f52
	;; [unrolled: 1-line block ×6, first 2 shown]
	.long	183041221                       ; 0xae8fcc5
	.long	3759390508                      ; 0xe013bf2c
	.long	3881974011                      ; 0xe76238fb
	.long	658115161                       ; 0x273a0a59
	.long	560642175                       ; 0x216ab87f
	.long	32860408                        ; 0x1f568f8
	.long	1321227669                      ; 0x4ec05595
	.long	1380454450                      ; 0x52481032
	;; [unrolled: 1-line block ×3, first 2 shown]
	.long	476585241                       ; 0x1c681d19
	.long	4034481274                      ; 0xf0794c7a
	.long	1110506516                      ; 0x4230fc14
	.long	815601591                       ; 0x309d17b7
	.long	2009522227                      ; 0x77c6e033
	.long	2168306897                      ; 0x813dbcd1
	;; [unrolled: 1-line block ×7, first 2 shown]
	.long	23109943                        ; 0x160a137
	.long	670045122                       ; 0x27f013c2
	.long	2926671795                      ; 0xae7177b3
	.long	4269143768                      ; 0xfe75f6d8
	;; [unrolled: 1-line block ×9, first 2 shown]
	.long	109336276                       ; 0x68456d4
	.long	2446546057                      ; 0x91d35489
	.long	2225682064                      ; 0x84a93690
	;; [unrolled: 1-line block ×4, first 2 shown]
	.long	369718877                       ; 0x1609765d
	.long	3411726117                      ; 0xcb5acf25
	.long	703735748                       ; 0x29f227c4
	.long	3139527634                      ; 0xbb2163d2
	.long	22388546                        ; 0x1559f42
	.long	998860697                       ; 0x3b896799
	.long	2532911305                      ; 0x96f928c9
	.long	1532808237                      ; 0x5b5ccc2d
	;; [unrolled: 1-line block ×11, first 2 shown]
	.long	991305574                       ; 0x3b161f66
	.long	898158502                       ; 0x3588cfa6
	.long	2898908951                      ; 0xacc9d717
	.long	651161128                       ; 0x26cfee28
	.long	1952607949                      ; 0x74626ecd
	.long	1221528540                      ; 0x48cf0bdc
	.long	29979722                        ; 0x1c9744a
	.long	3006846808                      ; 0xb338d758
	.long	2911550178                      ; 0xad8abae2
	;; [unrolled: 1-line block ×6, first 2 shown]
	.long	950505297                       ; 0x38a78f51
	.long	3469337654                      ; 0xcec9e436
	.long	3180457017                      ; 0xbd91ec39
	;; [unrolled: 1-line block ×5, first 2 shown]
	.long	391248106                       ; 0x1751f8ea
	.long	3622065314                      ; 0xd7e454a2
	.long	2143251073                      ; 0x7fbf6a81
	.long	860219584                       ; 0x3345e8c0
	.long	323835636                       ; 0x134d56f4
	;; [unrolled: 1-line block ×3, first 2 shown]
	.long	1805485977                      ; 0x6b9d8799
	.long	109344001                       ; 0x6847501
	.long	1537119779                      ; 0x5b9e9623
	.long	1795626099                      ; 0x6b071473
	;; [unrolled: 1-line block ×9, first 2 shown]
	.long	91252225                        ; 0x5706601
	.long	2018366053                      ; 0x784dd265
	.long	39675212                        ; 0x25d654c
	.long	979320891                       ; 0x3a5f403b
	.long	343397131                       ; 0x1477d30b
	;; [unrolled: 1-line block ×4, first 2 shown]
	.long	3287033048                      ; 0xc3ec24d8
	.long	3379301026                      ; 0xc96c0aa2
	;; [unrolled: 1-line block ×24, first 2 shown]
	.long	688245437                       ; 0x2905cabd
	.long	2593335056                      ; 0x9a932710
	.long	1657668516                      ; 0x62ce03a4
	;; [unrolled: 1-line block ×14, first 2 shown]
	.long	890124736                       ; 0x350e39c0
	.long	2185462193                      ; 0x824381b1
	.long	765141735                       ; 0x2d9b22e7
	.long	1841745804                      ; 0x6dc6cf8c
	.long	3562499272                      ; 0xd4576cc8
	;; [unrolled: 1-line block ×13, first 2 shown]
	.long	231347764                       ; 0xdca1634
	.long	2737121599                      ; 0xa325293f
	.long	1230656103                      ; 0x495a5267
	.long	4168131490                      ; 0xf870a3a2
	.long	1463860373                      ; 0x5740bc95
	.long	2760968409                      ; 0xa49108d9
	.long	2579133178                      ; 0x99ba72fa
	.long	2309591728                      ; 0x89a992b0
	.long	2958907244                      ; 0xb05d576c
	.long	1041094855                      ; 0x3e0dd8c7
	.long	685134804                       ; 0x28d653d4
	.long	3861095208                      ; 0xe623a328
	.long	1088109135                      ; 0x40db3a4f
	.long	815655228                       ; 0x309de93c
	.long	2618003265                      ; 0x9c0b8f41
	.long	3454840568                      ; 0xcdecaef8
	;; [unrolled: 1-line block ×4, first 2 shown]
	.long	663034899                       ; 0x27851c13
	.long	4020374281                      ; 0xefa20b09
	.long	1896863688                      ; 0x710fd7c8
	.long	677285319                       ; 0x285e8dc7
	.long	4047674693                      ; 0xf1429d45
	.long	4098535894                      ; 0xf44ab1d6
	.long	2038783953                      ; 0x79855fd1
	.long	236635760                       ; 0xe1ac670
	.long	3641273565                      ; 0xd9096cdd
	;; [unrolled: 4-line block ×3, first 2 shown]
	.long	3653227559                      ; 0xd9bfd427
	.long	281949942                       ; 0x10ce36f6
	.long	1847600066                      ; 0x6e2023c2
	.long	4168753288                      ; 0xf87a2088
	.long	1723123703                      ; 0x66b4c7f7
	.long	3600798445                      ; 0xd69fd2ed
	.long	4267802363                      ; 0xfe617efb
	.long	2947454105                      ; 0xafae9499
	.long	468768748                       ; 0x1bf0d7ec
	.long	2745777741                      ; 0xa3a93e4d
	.long	26635454                        ; 0x1966cbe
	.long	837186232                       ; 0x31e672b8
	.long	206931043                       ; 0xc558463
	.long	2601865569                      ; 0x9b155161
	.long	2021732453                      ; 0x78813065
	;; [unrolled: 1-line block ×3, first 2 shown]
	.long	786833002                       ; 0x2ee61e6a
	.long	116631308                       ; 0x6f3a70c
	.long	1604778670                      ; 0x5fa6faae
	.long	437644814                       ; 0x1a15ee0e
	.long	2437761489                      ; 0x914d49d1
	.long	3573139998                      ; 0xd4f9ca1e
	;; [unrolled: 1-line block ×3, first 2 shown]
	.long	972076738                       ; 0x39f0b6c2
	.long	4075927397                      ; 0xf2f1b765
	.long	1427554739                      ; 0x5516c1b3
	.long	597414077                       ; 0x239bd0bd
	.long	559325169                       ; 0x21569ff1
	.long	1774857312                      ; 0x69ca2c60
	.long	224593737                       ; 0xd630749
	.long	3697511293                      ; 0xdc638b7d
	.long	3905126277                      ; 0xe8c37f85
	;; [unrolled: 1-line block ×4, first 2 shown]
	.long	333176687                       ; 0x13dbdf6f
	.long	2988562696                      ; 0xb221d908
	.long	3623938567                      ; 0xd800ea07
	;; [unrolled: 1-line block ×9, first 2 shown]
	.long	565952761                       ; 0x21bbc0f9
	.long	566996714                       ; 0x21cbaeea
	;; [unrolled: 1-line block ×3, first 2 shown]
	.long	3648349163                      ; 0xd97563eb
	.long	115456167                       ; 0x6e1b8a7
	.long	3265051494                      ; 0xc29cbb66
	.long	2826313040                      ; 0xa8761d50
	;; [unrolled: 1-line block ×6, first 2 shown]
	.long	959265349                       ; 0x392d3a45
	.long	851980436                       ; 0x32c83094
	.long	3105565302                      ; 0xb91b2a76
	.long	2905096898                      ; 0xad2842c2
	.long	342438530                       ; 0x14693282
	.long	3428101638                      ; 0xcc54ae06
	.long	912389587                       ; 0x3661f5d3
	.long	2306839396                      ; 0x897f9364
	.long	3613297213                      ; 0xd75e8a3d
	.long	200159550                       ; 0xbee313e
	.long	3406974927                      ; 0xcb124fcf
	.long	832121231                       ; 0x3199298f
	.long	2998593393                      ; 0xb2bae771
	.long	1242069873                      ; 0x4a087b71
	;; [unrolled: 1-line block ×6, first 2 shown]
	.long	986958825                       ; 0x3ad3cbe9
	.long	3332332947                      ; 0xc69f5d93
	.long	1610600284                      ; 0x5fffcf5c
	;; [unrolled: 1-line block ×4, first 2 shown]
	.long	537698841                       ; 0x200ca219
	.long	2234324389                      ; 0x852d15a5
	.long	1682296894                      ; 0x6445d03e
	;; [unrolled: 1-line block ×20, first 2 shown]
	.long	688245437                       ; 0x2905cabd
	.long	2593335056                      ; 0x9a932710
	.long	1657668516                      ; 0x62ce03a4
	;; [unrolled: 1-line block ×3, first 2 shown]
	.long	260803614                       ; 0xf8b8c1e
	.long	2460564382                      ; 0x92a93b9e
	.long	2811435329                      ; 0xa7931941
	;; [unrolled: 1-line block ×9, first 2 shown]
	.long	688976997                       ; 0x2910f465
	.long	890124736                       ; 0x350e39c0
	.long	2185462193                      ; 0x824381b1
	.long	765141735                       ; 0x2d9b22e7
	.long	1841745804                      ; 0x6dc6cf8c
	.long	1113361455                      ; 0x425c8c2f
	;; [unrolled: 1-line block ×11, first 2 shown]
	.long	449353539                       ; 0x1ac89743
	.long	3224086539                      ; 0xc02ba80b
	.long	231347764                       ; 0xdca1634
	.long	2737121599                      ; 0xa325293f
	.long	1230656103                      ; 0x495a5267
	.long	2122699205                      ; 0x7e85d1c5
	.long	1463860373                      ; 0x5740bc95
	.long	2760968409                      ; 0xa49108d9
	.long	2579133178                      ; 0x99ba72fa
	.long	2309591728                      ; 0x89a992b0
	.long	4017154219                      ; 0xef70e8ab
	.long	1041094855                      ; 0x3e0dd8c7
	.long	685134804                       ; 0x28d653d4
	.long	3861095208                      ; 0xe623a328
	.long	1088109135                      ; 0x40db3a4f
	;; [unrolled: 1-line block ×10, first 2 shown]
	.long	677285319                       ; 0x285e8dc7
	.long	4047674693                      ; 0xf1429d45
	.long	4043186819                      ; 0xf0fe2283
	;; [unrolled: 1-line block ×3, first 2 shown]
	.long	236635760                       ; 0xe1ac670
	.long	3641273565                      ; 0xd9096cdd
	.long	3568356824                      ; 0xd4b0cdd8
	;; [unrolled: 1-line block ×3, first 2 shown]
	.long	186484522                       ; 0xb1d872a
	.long	3626346451                      ; 0xd825a7d3
	.long	3653227559                      ; 0xd9bfd427
	.long	281949942                       ; 0x10ce36f6
	.long	1896524045                      ; 0x710aa90d
	.long	4168753288                      ; 0xf87a2088
	;; [unrolled: 1-line block ×5, first 2 shown]
	.long	412498526                       ; 0x18963a5e
	.long	468768748                       ; 0x1bf0d7ec
	.long	2745777741                      ; 0xa3a93e4d
	.long	26635454                        ; 0x1966cbe
	.long	837186232                       ; 0x31e672b8
	.long	1473941762                      ; 0x57da9102
	.long	2601865569                      ; 0x9b155161
	.long	2021732453                      ; 0x78813065
	.long	3171165636                      ; 0xbd0425c4
	.long	786833002                       ; 0x2ee61e6a
	.long	3461566768                      ; 0xce535130
	.long	1604778670                      ; 0x5fa6faae
	.long	437644814                       ; 0x1a15ee0e
	.long	2437761489                      ; 0x914d49d1
	.long	3573139998                      ; 0xd4f9ca1e
	.long	306196591                       ; 0x1240306f
	.long	972076738                       ; 0x39f0b6c2
	.long	4075927397                      ; 0xf2f1b765
	.long	1427554739                      ; 0x5516c1b3
	.long	597414077                       ; 0x239bd0bd
	.long	2401305323                      ; 0x8f2102eb
	.long	1774857312                      ; 0x69ca2c60
	;; [unrolled: 3-line block ×3, first 2 shown]
	.long	1527832817                      ; 0x5b10e0f1
	.long	1847061846                      ; 0x6e17ed56
	.long	333176687                       ; 0x13dbdf6f
	.long	2988562696                      ; 0xb221d908
	.long	3623938567                      ; 0xd800ea07
	;; [unrolled: 1-line block ×9, first 2 shown]
	.long	565952761                       ; 0x21bbc0f9
	.long	566996714                       ; 0x21cbaeea
	;; [unrolled: 1-line block ×3, first 2 shown]
	.long	1639884175                      ; 0x61bea58f
	.long	115456167                       ; 0x6e1b8a7
	.long	3265051494                      ; 0xc29cbb66
	.long	2826313040                      ; 0xa8761d50
	;; [unrolled: 1-line block ×6, first 2 shown]
	.long	959265349                       ; 0x392d3a45
	.long	851980436                       ; 0x32c83094
	.long	2482970929                      ; 0x93ff2131
	.long	2905096898                      ; 0xad2842c2
	.long	342438530                       ; 0x14693282
	.long	3428101638                      ; 0xcc54ae06
	.long	912389587                       ; 0x3661f5d3
	.long	2716490551                      ; 0xa1ea5b37
	.long	3613297213                      ; 0xd75e8a3d
	.long	200159550                       ; 0xbee313e
	.long	3406974927                      ; 0xcb124fcf
	.long	832121231                       ; 0x3199298f
	.long	2865829307                      ; 0xaad115bb
	.long	1242069873                      ; 0x4a087b71
	;; [unrolled: 1-line block ×6, first 2 shown]
	.long	986958825                       ; 0x3ad3cbe9
	.long	3332332947                      ; 0xc69f5d93
	.long	1610600284                      ; 0x5fffcf5c
	;; [unrolled: 1-line block ×3, first 2 shown]
	.long	164496953                       ; 0x9ce0639
	.long	537698841                       ; 0x200ca219
	.long	2234324389                      ; 0x852d15a5
	.long	1682296894                      ; 0x6445d03e
	;; [unrolled: 1-line block ×3, first 2 shown]
	.long	486931321                       ; 0x1d05fb79
	.long	1112334635                      ; 0x424ce12b
	.long	1754723911                      ; 0x6896f647
	;; [unrolled: 1-line block ×4, first 2 shown]
	.long	898439171                       ; 0x358d1803
	.long	2702680798                      ; 0xa117a2de
	.long	3827569659                      ; 0xe42413fb
	;; [unrolled: 1-line block ×11, first 2 shown]
	.long	688245437                       ; 0x2905cabd
	.long	2593335056                      ; 0x9a932710
	.long	1657668516                      ; 0x62ce03a4
	.long	362342820                       ; 0x1598e9a4
	.long	260803614                       ; 0xf8b8c1e
	.long	2460564382                      ; 0x92a93b9e
	.long	2811435329                      ; 0xa7931941
	;; [unrolled: 1-line block ×9, first 2 shown]
	.long	688976997                       ; 0x2910f465
	.long	890124736                       ; 0x350e39c0
	.long	2185462193                      ; 0x824381b1
	.long	765141735                       ; 0x2d9b22e7
	.long	2445632748                      ; 0x91c564ec
	.long	1113361455                      ; 0x425c8c2f
	;; [unrolled: 1-line block ×11, first 2 shown]
	.long	449353539                       ; 0x1ac89743
	.long	3224086539                      ; 0xc02ba80b
	.long	231347764                       ; 0xdca1634
	.long	2737121599                      ; 0xa325293f
	.long	2917779591                      ; 0xade9c887
	;; [unrolled: 1-line block ×9, first 2 shown]
	.long	685134804                       ; 0x28d653d4
	.long	3861095208                      ; 0xe623a328
	.long	3682591427                      ; 0xdb7fe2c3
	.long	3954527144                      ; 0xebb54ba8
	.long	2618003265                      ; 0x9c0b8f41
	.long	3454840568                      ; 0xcdecaef8
	.long	1668276240                      ; 0x636fe010
	.long	988400088                       ; 0x3ae9c9d8
	.long	3235241899                      ; 0xc0d5dfab
	.long	4020374281                      ; 0xefa20b09
	.long	1896863688                      ; 0x710fd7c8
	.long	677285319                       ; 0x285e8dc7
	.long	2749516227                      ; 0xa3e249c3
	.long	4043186819                      ; 0xf0fe2283
	.long	2038783953                      ; 0x79855fd1
	;; [unrolled: 4-line block ×3, first 2 shown]
	.long	186484522                       ; 0xb1d872a
	.long	3626346451                      ; 0xd825a7d3
	.long	3653227559                      ; 0xd9bfd427
	.long	872336642                       ; 0x33fecd02
	.long	1896524045                      ; 0x710aa90d
	.long	4168753288                      ; 0xf87a2088
	;; [unrolled: 1-line block ×4, first 2 shown]
	.long	524095357                       ; 0x1f3d0f7d
	.long	412498526                       ; 0x18963a5e
	;; [unrolled: 1-line block ×3, first 2 shown]
	.long	2745777741                      ; 0xa3a93e4d
	.long	26635454                        ; 0x1966cbe
	.long	840544541                       ; 0x3219b11d
	.long	1473941762                      ; 0x57da9102
	.long	2601865569                      ; 0x9b155161
	;; [unrolled: 1-line block ×7, first 2 shown]
	.long	437644814                       ; 0x1a15ee0e
	.long	2437761489                      ; 0x914d49d1
	.long	3615438045                      ; 0xd77f34dd
	.long	306196591                       ; 0x1240306f
	.long	972076738                       ; 0x39f0b6c2
	.long	4075927397                      ; 0xf2f1b765
	.long	1427554739                      ; 0x5516c1b3
	;; [unrolled: 1-line block ×5, first 2 shown]
	.long	224593737                       ; 0xd630749
	.long	3697511293                      ; 0xdc638b7d
	.long	4186564433                      ; 0xf989e751
	;; [unrolled: 1-line block ×4, first 2 shown]
	.long	333176687                       ; 0x13dbdf6f
	.long	2988562696                      ; 0xb221d908
	.long	4039340326                      ; 0xf0c37126
	;; [unrolled: 1-line block ×6, first 2 shown]
	.long	307949376                       ; 0x125aef40
	.long	1991088422                      ; 0x76ad9926
	.long	4176957983                      ; 0xf8f7521f
	.long	565952761                       ; 0x21bbc0f9
	.long	566996714                       ; 0x21cbaeea
	.long	4159448552                      ; 0xf7ec25e8
	.long	1639884175                      ; 0x61bea58f
	.long	115456167                       ; 0x6e1b8a7
	.long	3265051494                      ; 0xc29cbb66
	.long	2826313040                      ; 0xa8761d50
	;; [unrolled: 1-line block ×6, first 2 shown]
	.long	959265349                       ; 0x392d3a45
	.long	293029699                       ; 0x11774743
	.long	2482970929                      ; 0x93ff2131
	.long	2905096898                      ; 0xad2842c2
	.long	342438530                       ; 0x14693282
	.long	3428101638                      ; 0xcc54ae06
	.long	4172766741                      ; 0xf8b75e15
	;; [unrolled: 1-line block ×4, first 2 shown]
	.long	200159550                       ; 0xbee313e
	.long	3406974927                      ; 0xcb124fcf
	.long	3723281866                      ; 0xddecc5ca
	;; [unrolled: 1-line block ×8, first 2 shown]
	.long	986958825                       ; 0x3ad3cbe9
	.long	3332332947                      ; 0xc69f5d93
	.long	1610600284                      ; 0x5fffcf5c
	.long	2370407607                      ; 0x8d498cb7
	.long	164496953                       ; 0x9ce0639
	.long	537698841                       ; 0x200ca219
	.long	2234324389                      ; 0x852d15a5
	.long	1682296894                      ; 0x6445d03e
	.long	826891606                       ; 0x31495d56
	.long	486931321                       ; 0x1d05fb79
	.long	1112334635                      ; 0x424ce12b
	.long	1754723911                      ; 0x6896f647
	;; [unrolled: 1-line block ×4, first 2 shown]
	.long	898439171                       ; 0x358d1803
	.long	2702680798                      ; 0xa117a2de
	.long	3827569659                      ; 0xe42413fb
	;; [unrolled: 1-line block ×11, first 2 shown]
	.long	688245437                       ; 0x2905cabd
	.long	2593335056                      ; 0x9a932710
	.long	4151905751                      ; 0xf7790dd7
	.long	362342820                       ; 0x1598e9a4
	.long	260803614                       ; 0xf8b8c1e
	.long	2460564382                      ; 0x92a93b9e
	.long	2811435329                      ; 0xa7931941
	;; [unrolled: 1-line block ×9, first 2 shown]
	.long	688976997                       ; 0x2910f465
	.long	890124736                       ; 0x350e39c0
	.long	2185462193                      ; 0x824381b1
	.long	303105066                       ; 0x1211042a
	.long	2445632748                      ; 0x91c564ec
	.long	1113361455                      ; 0x425c8c2f
	;; [unrolled: 1-line block ×4, first 2 shown]
	.long	62024604                        ; 0x3b26b9c
	.long	1830953748                      ; 0x6d222314
	.long	1719248425                      ; 0x6679a629
	;; [unrolled: 1-line block ×4, first 2 shown]
	.long	667433630                       ; 0x27c83a9e
	.long	2469362144                      ; 0x932f79e0
	.long	449353539                       ; 0x1ac89743
	.long	3224086539                      ; 0xc02ba80b
	;; [unrolled: 2-line block ×3, first 2 shown]
	.long	2917779591                      ; 0xade9c887
	.long	2122699205                      ; 0x7e85d1c5
	;; [unrolled: 1-line block ×8, first 2 shown]
	.long	685134804                       ; 0x28d653d4
	.long	643006688                       ; 0x265380e0
	.long	3682591427                      ; 0xdb7fe2c3
	.long	3954527144                      ; 0xebb54ba8
	;; [unrolled: 1-line block ×5, first 2 shown]
	.long	988400088                       ; 0x3ae9c9d8
	.long	3235241899                      ; 0xc0d5dfab
	.long	4020374281                      ; 0xefa20b09
	;; [unrolled: 1-line block ×7, first 2 shown]
	.long	236635760                       ; 0xe1ac670
	.long	2880089648                      ; 0xabaaae30
	.long	4073317913                      ; 0xf2c9e619
	;; [unrolled: 1-line block ×3, first 2 shown]
	.long	186484522                       ; 0xb1d872a
	.long	3626346451                      ; 0xd825a7d3
	.long	2454620114                      ; 0x924e87d2
	.long	872336642                       ; 0x33fecd02
	.long	1896524045                      ; 0x710aa90d
	.long	4168753288                      ; 0xf87a2088
	;; [unrolled: 1-line block ×4, first 2 shown]
	.long	524095357                       ; 0x1f3d0f7d
	.long	412498526                       ; 0x18963a5e
	;; [unrolled: 1-line block ×3, first 2 shown]
	.long	2745777741                      ; 0xa3a93e4d
	.long	918726515                       ; 0x36c2a773
	.long	840544541                       ; 0x3219b11d
	.long	1473941762                      ; 0x57da9102
	.long	2601865569                      ; 0x9b155161
	;; [unrolled: 1-line block ×7, first 2 shown]
	.long	437644814                       ; 0x1a15ee0e
	.long	2894699005                      ; 0xac8999fd
	.long	3615438045                      ; 0xd77f34dd
	.long	306196591                       ; 0x1240306f
	.long	972076738                       ; 0x39f0b6c2
	.long	4075927397                      ; 0xf2f1b765
	.long	3468671461                      ; 0xcebfb9e5
	;; [unrolled: 1-line block ×5, first 2 shown]
	.long	224593737                       ; 0xd630749
	.long	2734827022                      ; 0xa302260e
	.long	4186564433                      ; 0xf989e751
	;; [unrolled: 1-line block ×4, first 2 shown]
	.long	333176687                       ; 0x13dbdf6f
	.long	2437714719                      ; 0x914c931f
	.long	4039340326                      ; 0xf0c37126
	;; [unrolled: 1-line block ×5, first 2 shown]
	.long	196072958                       ; 0xbafd5fe
	.long	307949376                       ; 0x125aef40
	.long	1991088422                      ; 0x76ad9926
	.long	4176957983                      ; 0xf8f7521f
	.long	565952761                       ; 0x21bbc0f9
	.long	847200194                       ; 0x327f3fc2
	.long	4159448552                      ; 0xf7ec25e8
	.long	1639884175                      ; 0x61bea58f
	.long	115456167                       ; 0x6e1b8a7
	.long	3265051494                      ; 0xc29cbb66
	.long	2503079777                      ; 0x9531f761
	;; [unrolled: 1-line block ×7, first 2 shown]
	.long	293029699                       ; 0x11774743
	.long	2482970929                      ; 0x93ff2131
	.long	2905096898                      ; 0xad2842c2
	.long	342438530                       ; 0x14693282
	.long	581060953                       ; 0x22a24959
	.long	4172766741                      ; 0xf8b75e15
	.long	2716490551                      ; 0xa1ea5b37
	;; [unrolled: 1-line block ×3, first 2 shown]
	.long	200159550                       ; 0xbee313e
	.long	4222335623                      ; 0xfbabba87
	.long	3723281866                      ; 0xddecc5ca
	;; [unrolled: 1-line block ×8, first 2 shown]
	.long	986958825                       ; 0x3ad3cbe9
	.long	3332332947                      ; 0xc69f5d93
	.long	920422540                       ; 0x36dc888c
	.long	3656094274                      ; 0xd9eb9242
	.long	4036161427                      ; 0xf092ef93
	.long	2157099981                      ; 0x8092bbcd
	.long	1855437762                      ; 0x6e97bbc2
	.long	1385781426                      ; 0x529958b2
	.long	199192882                       ; 0xbdf7132
	.long	489599802                       ; 0x1d2eb33a
	.long	3472601685                      ; 0xcefbb255
	.long	717544078                       ; 0x2ac4da8e
	.long	2241742884                      ; 0x859e4824
	.long	3951326913                      ; 0xeb8476c1
	.long	3590866192                      ; 0xd6084510
	.long	1087524220                      ; 0x40d24d7c
	.long	3517385549                      ; 0xd1a70b4d
	.long	360484251                       ; 0x157c8d9b
	.long	2718513148                      ; 0xa20937fc
	.long	1386577185                      ; 0x52a57d21
	.long	1833613127                      ; 0x6d4ab747
	.long	2926418589                      ; 0xae6d9a9d
	;; [unrolled: 6-line block ×3, first 2 shown]
	.long	200554865                       ; 0xbf43971
	.long	2442780740                      ; 0x9199e044
	.long	2359926428                      ; 0x8ca99e9c
	;; [unrolled: 1-line block ×4, first 2 shown]
	.long	134294482                       ; 0x8012bd2
	.long	936225458                       ; 0x37cdaab2
	.long	1968264650                      ; 0x755155ca
	.long	64868134                        ; 0x3ddcf26
	.long	3821668262                      ; 0xe3ca07a6
	.long	2502175363                      ; 0x95242a83
	;; [unrolled: 1-line block ×9, first 2 shown]
	.long	496586185                       ; 0x1d994dc9
	.long	2491564144                      ; 0x94824070
	.long	2415210641                      ; 0x8ff53091
	.long	314307270                       ; 0x12bbf2c6
	.long	2936737494                      ; 0xaf0b0ed6
	.long	557604388                       ; 0x213c5e24
	.long	1067914024                      ; 0x3fa71328
	.long	3270690738                      ; 0xc2f2c7b2
	.long	375601880                       ; 0x16633ad8
	.long	962749065                       ; 0x39626289
	.long	3610467620                      ; 0xd7335d24
	.long	402112984                       ; 0x17f7c1d8
	.long	1432929499                      ; 0x5568c4db
	.long	3872957776                      ; 0xe6d8a550
	;; [unrolled: 1-line block ×4, first 2 shown]
	.long	407083609                       ; 0x18439a59
	.long	2178236674                      ; 0x81d54102
	.long	1806303230                      ; 0x6ba9fffe
	;; [unrolled: 1-line block ×3, first 2 shown]
	.long	12158764                        ; 0xb9872c
	.long	415570813                       ; 0x18c51b7d
	.long	4033667395                      ; 0xf06ce143
	.long	3687406137                      ; 0xdbc95a39
	.long	801878150                       ; 0x2fcbb086
	.long	953500350                       ; 0x38d542be
	.long	3667783172                      ; 0xda9dee04
	.long	1203668106                      ; 0x47be848a
	.long	902418194                       ; 0x35c9cf12
	.long	779786150                       ; 0x2e7a97a6
	;; [unrolled: 1-line block ×3, first 2 shown]
	.long	2870261992                      ; 0xab14b8e8
	.long	509192460                       ; 0x1e59a90c
	.long	1961621392                      ; 0x74ebf790
	.long	1064906432                      ; 0x3f792ec0
	;; [unrolled: 1-line block ×7, first 2 shown]
	.long	29074501                        ; 0x1bba445
	.long	3472521950                      ; 0xcefa7ade
	.long	4040841657                      ; 0xf0da59b9
	.long	532128023                       ; 0x1fb7a117
	.long	2333441401                      ; 0x8b157d79
	.long	1671717886                      ; 0x63a463fe
	;; [unrolled: 1-line block ×11, first 2 shown]
	.long	730632118                       ; 0x2b8c8fb6
	.long	3162408393                      ; 0xbc7e85c9
	.long	3423660386                      ; 0xcc10e962
	;; [unrolled: 1-line block ×8, first 2 shown]
	.long	281755151                       ; 0x10cb3e0f
	.long	1530909868                      ; 0x5b3fd4ac
	.long	2364069707                      ; 0x8ce8d74b
	;; [unrolled: 1-line block ×3, first 2 shown]
	.long	738500028                       ; 0x2c049dbc
	.long	1401903990                      ; 0x538f5b76
	.long	1543704261                      ; 0x5c030ec5
	;; [unrolled: 1-line block ×5, first 2 shown]
	.long	740024557                       ; 0x2c1be0ed
	.long	1591015439                      ; 0x5ed4f80f
	.long	2730909167                      ; 0xa2c65def
	;; [unrolled: 1-line block ×12, first 2 shown]
	.long	771243134                       ; 0x2df83c7e
	.long	4037723169                      ; 0xf0aac421
	.long	1715894739                      ; 0x664679d3
	.long	1025821874                      ; 0x3d24ccb2
	.long	1924958945                      ; 0x72bc8ae1
	.long	3382242859                      ; 0xc998ee2b
	.long	121591031                       ; 0x73f54f7
	.long	483980724                       ; 0x1cd8f5b4
	;; [unrolled: 1-line block ×3, first 2 shown]
	.long	2446882279                      ; 0x91d875e7
	.long	856267778                       ; 0x33099c02
	.long	578739009                       ; 0x227edb41
	.long	2978085488                      ; 0xb181fa70
	.long	480884914                       ; 0x1ca9b8b2
	.long	966764808                       ; 0x399fa908
	;; [unrolled: 1-line block ×3, first 2 shown]
	.long	3817520708                      ; 0xe38abe44
	.long	1113646451                      ; 0x4260e573
	;; [unrolled: 1-line block ×4, first 2 shown]
	.long	717151671                       ; 0x2abeddb7
	.long	4149352573                      ; 0xf752187d
	.long	1568869830                      ; 0x5d830dc6
	.long	395015863                       ; 0x178b76b7
	.long	773165995                       ; 0x2e1593ab
	.long	1853682362                      ; 0x6e7cf2ba
	.long	2861368846                      ; 0xaa8d060e
	;; [unrolled: 1-line block ×4, first 2 shown]
	.long	916910638                       ; 0x36a6f22e
	.long	961623451                       ; 0x3951359b
	.long	1193013401                      ; 0x471bf099
	.long	1016438484                      ; 0x3c959ed4
	.long	4091279871                      ; 0xf3dbf9ff
	.long	287282633                       ; 0x111f95c9
	.long	8590725                         ; 0x831585
	.long	3575333670                      ; 0xd51b4326
	.long	324340905                       ; 0x13550ca9
	.long	3133751747                      ; 0xbac941c3
	.long	2840894649                      ; 0xa9549cb9
	;; [unrolled: 1-line block ×5, first 2 shown]
	.long	72516413                        ; 0x452833d
	.long	4158424384                      ; 0xf7dc8540
	.long	2184094569                      ; 0x822ea369
	.long	2305724254                      ; 0x896e8f5e
	.long	4057093054                      ; 0xf1d253be
	.long	1407652993                      ; 0x53e71481
	.long	3105191537                      ; 0xb9157671
	.long	768505376                       ; 0x2dce7620
	.long	298782270                       ; 0x11cf0e3e
	;; [unrolled: 1-line block ×3, first 2 shown]
	.long	2694730042                      ; 0xa09e513a
	.long	1479658113                      ; 0x5831ca81
	;; [unrolled: 1-line block ×13, first 2 shown]
	.long	431888679                       ; 0x19be1927
	.long	3780324902                      ; 0xe1532e26
	.long	2525978209                      ; 0x968f5e61
	.long	54545903                        ; 0x3404def
	.long	1688749940                      ; 0x64a84774
	.long	2394884334                      ; 0x8ebf08ee
	;; [unrolled: 1-line block ×3, first 2 shown]
	.long	263834270                       ; 0xfb9ca9e
	.long	1562965459                      ; 0x5d28f5d3
	.long	804704330                       ; 0x2ff6d04a
	.long	4185729868                      ; 0xf97d2b4c
	;; [unrolled: 2-line block ×5, first 2 shown]
	.long	4095101181                      ; 0xf41648fd
	.long	1510586062                      ; 0x5a09b6ce
	.long	156282440                       ; 0x950ae48
	.long	3386839706                      ; 0xc9df129a
	.long	2294393752                      ; 0x88c1ab98
	;; [unrolled: 1-line block ×4, first 2 shown]
	.long	651716500                       ; 0x26d86794
	.long	4115192738                      ; 0xf548dba2
	.long	123027719                       ; 0x7554107
	.long	3873547487                      ; 0xe6e1a4df
	.long	2910637335                      ; 0xad7ccd17
	;; [unrolled: 1-line block ×4, first 2 shown]
	.long	956791985                       ; 0x39077cb1
	.long	2467423726                      ; 0x9311e5ee
	.long	3214531645                      ; 0xbf99dc3d
	;; [unrolled: 1-line block ×3, first 2 shown]
	.long	49634692                        ; 0x2f55d84
	.long	377192215                       ; 0x167b7f17
	.long	1865068750                      ; 0x6f2ab0ce
	.long	2479252980                      ; 0x93c665f4
	;; [unrolled: 1-line block ×4, first 2 shown]
	.long	605491073                       ; 0x24170f81
	.long	4062466752                      ; 0xf22452c0
	.long	988602517                       ; 0x3aece095
	.long	1539348794                      ; 0x5bc0993a
	.long	1555068617                      ; 0x5cb076c9
	;; [unrolled: 1-line block ×3, first 2 shown]
	.long	460334294                       ; 0x1b7024d6
	.long	4240766479                      ; 0xfcc4f60f
	.long	3639800790                      ; 0xd8f2f3d6
	.long	253377117                       ; 0xf1a3a5d
	.long	3969136265                      ; 0xec943689
	.long	488705329                       ; 0x1d210d31
	.long	1722560286                      ; 0x66ac2f1e
	.long	2289159295                      ; 0x8871cc7f
	;; [unrolled: 1-line block ×4, first 2 shown]
	.long	767521707                       ; 0x2dbf73ab
	.long	2047999999                      ; 0x7a11ffff
	.long	4260853571                      ; 0xfdf77743
	.long	2079302241                      ; 0x7befa261
	.long	2409677301                      ; 0x8fa0c1f5
	.long	1087552976                      ; 0x40d2bdd0
	.long	2363907365                      ; 0x8ce65d25
	.long	2574464321                      ; 0x99733541
	.long	2606273241                      ; 0x9b5892d9
	.long	3716086457                      ; 0xdd7efab9
	.long	26053603                        ; 0x18d8be3
	.long	3162779415                      ; 0xbc842f17
	.long	14843078                        ; 0xe27cc6
	.long	2614076143                      ; 0x9bcfa2ef
	.long	1157531920                      ; 0x44fe8910
	;; [unrolled: 1-line block ×4, first 2 shown]
	.long	435472225                       ; 0x19f4c761
	.long	1399711137                      ; 0x536de5a1
	.long	1224374788                      ; 0x48fa7a04
	;; [unrolled: 1-line block ×3, first 2 shown]
	.long	560135209                       ; 0x2162fc29
	.long	935800607                       ; 0x37c72f1f
	.long	1940258814                      ; 0x73a5fffe
	.long	3826959530                      ; 0xe41ac4aa
	;; [unrolled: 1-line block ×8, first 2 shown]
	.long	177901558                       ; 0xa9a8ff6
	.long	4167531389                      ; 0xf8677b7d
	.long	1375148189                      ; 0x51f7189d
	;; [unrolled: 1-line block ×3, first 2 shown]
	.long	557218961                       ; 0x21367c91
	.long	4088880299                      ; 0xf3b75cab
	.long	3478859071                      ; 0xcf5b2d3f
	;; [unrolled: 1-line block ×8, first 2 shown]
	.long	843542578                       ; 0x32477032
	.long	1907952570                      ; 0x71b90bba
	.long	1544844563                      ; 0x5c147513
	;; [unrolled: 1-line block ×4, first 2 shown]
	.long	734347193                       ; 0x2bc53fb9
	.long	102566945                       ; 0x61d0c21
	.long	2311037104                      ; 0x89bfa0b0
	.long	4294750194                      ; 0xfffcaff2
	;; [unrolled: 1-line block ×3, first 2 shown]
	.long	732958152                       ; 0x2bb00dc8
	.long	263733314                       ; 0xfb84042
	.long	2087890678                      ; 0x7c72aef6
	.long	331542297                       ; 0x13c2ef19
	.long	3549110380                      ; 0xd38b206c
	.long	2073894939                      ; 0x7b9d201b
	;; [unrolled: 1-line block ×8, first 2 shown]
	.long	44327348                        ; 0x2a461b4
	.long	916910638                       ; 0x36a6f22e
	.long	961623451                       ; 0x3951359b
	.long	1193013401                      ; 0x471bf099
	.long	1016438484                      ; 0x3c959ed4
	;; [unrolled: 1-line block ×3, first 2 shown]
	.long	287282633                       ; 0x111f95c9
	.long	8590725                         ; 0x831585
	.long	3575333670                      ; 0xd51b4326
	.long	324340905                       ; 0x13550ca9
	.long	1144671533                      ; 0x443a4d2d
	.long	2840894649                      ; 0xa9549cb9
	;; [unrolled: 1-line block ×10, first 2 shown]
	.long	533488413                       ; 0x1fcc631d
	.long	3105191537                      ; 0xb9157671
	.long	768505376                       ; 0x2dce7620
	.long	298782270                       ; 0x11cf0e3e
	;; [unrolled: 1-line block ×3, first 2 shown]
	.long	2015456740                      ; 0x78216de4
	.long	1479658113                      ; 0x5831ca81
	;; [unrolled: 1-line block ×10, first 2 shown]
	.long	729503771                       ; 0x2b7b581b
	.long	3748950898                      ; 0xdf747372
	.long	2182744253                      ; 0x821a08bd
	.long	431888679                       ; 0x19be1927
	.long	3780324902                      ; 0xe1532e26
	.long	373638396                       ; 0x164544fc
	.long	54545903                        ; 0x3404def
	.long	1688749940                      ; 0x64a84774
	.long	2394884334                      ; 0x8ebf08ee
	;; [unrolled: 1-line block ×5, first 2 shown]
	.long	804704330                       ; 0x2ff6d04a
	.long	4185729868                      ; 0xf97d2b4c
	.long	138898835                       ; 0x8476d93
	.long	823405282                       ; 0x31142ae2
	;; [unrolled: 1-line block ×3, first 2 shown]
	.long	1252226275                      ; 0x4aa374e3
	.long	935318076                       ; 0x37bfd23c
	.long	2956823075                      ; 0xb03d8a23
	.long	899234846                       ; 0x35993c1e
	;; [unrolled: 2-line block ×3, first 2 shown]
	.long	3386839706                      ; 0xc9df129a
	.long	2294393752                      ; 0x88c1ab98
	;; [unrolled: 1-line block ×4, first 2 shown]
	.long	651716500                       ; 0x26d86794
	.long	4115192738                      ; 0xf548dba2
	.long	123027719                       ; 0x7554107
	.long	3729538641                      ; 0xde4c3e51
	.long	2910637335                      ; 0xad7ccd17
	;; [unrolled: 1-line block ×4, first 2 shown]
	.long	956791985                       ; 0x39077cb1
	.long	139360134                       ; 0x84e7786
	.long	3214531645                      ; 0xbf99dc3d
	.long	2054232851                      ; 0x7a711b13
	.long	49634692                        ; 0x2f55d84
	.long	377192215                       ; 0x167b7f17
	.long	2754746969                      ; 0xa4321a59
	.long	2479252980                      ; 0x93c665f4
	;; [unrolled: 1-line block ×4, first 2 shown]
	.long	605491073                       ; 0x24170f81
	.long	732155706                       ; 0x2ba3cf3a
	;; [unrolled: 1-line block ×3, first 2 shown]
	.long	1539348794                      ; 0x5bc0993a
	.long	1555068617                      ; 0x5cb076c9
	;; [unrolled: 1-line block ×6, first 2 shown]
	.long	253377117                       ; 0xf1a3a5d
	.long	3969136265                      ; 0xec943689
	.long	3848735787                      ; 0xe5670c2b
	;; [unrolled: 1-line block ×18, first 2 shown]
	.long	14843078                        ; 0xe27cc6
	.long	2614076143                      ; 0x9bcfa2ef
	.long	1157531920                      ; 0x44fe8910
	.long	826449637                       ; 0x31429ee5
	.long	2338825066                      ; 0x8b67a36a
	.long	435472225                       ; 0x19f4c761
	.long	1399711137                      ; 0x536de5a1
	.long	1224374788                      ; 0x48fa7a04
	;; [unrolled: 1-line block ×3, first 2 shown]
	.long	560135209                       ; 0x2162fc29
	.long	935800607                       ; 0x37c72f1f
	.long	1940258814                      ; 0x73a5fffe
	.long	3826959530                      ; 0xe41ac4aa
	;; [unrolled: 1-line block ×8, first 2 shown]
	.long	177901558                       ; 0xa9a8ff6
	.long	4167531389                      ; 0xf8677b7d
	.long	1375148189                      ; 0x51f7189d
	;; [unrolled: 1-line block ×12, first 2 shown]
	.long	843542578                       ; 0x32477032
	.long	2798365898                      ; 0xa6cbacca
	.long	1544844563                      ; 0x5c147513
	;; [unrolled: 1-line block ×4, first 2 shown]
	.long	734347193                       ; 0x2bc53fb9
	.long	1856808621                      ; 0x6eaca6ad
	.long	2311037104                      ; 0x89bfa0b0
	.long	4294750194                      ; 0xfffcaff2
	.long	3572240326                      ; 0xd4ec0fc6
	.long	732958152                       ; 0x2bb00dc8
	.long	1999195012                      ; 0x77294b84
	.long	2087890678                      ; 0x7c72aef6
	.long	331542297                       ; 0x13c2ef19
	.long	3549110380                      ; 0xd38b206c
	.long	2073894939                      ; 0x7b9d201b
	;; [unrolled: 1-line block ×7, first 2 shown]
	.long	132796150                       ; 0x7ea4ef6
	.long	44327348                        ; 0x2a461b4
	.long	916910638                       ; 0x36a6f22e
	.long	961623451                       ; 0x3951359b
	.long	1193013401                      ; 0x471bf099
	.long	1753944196                      ; 0x688b1084
	;; [unrolled: 1-line block ×3, first 2 shown]
	.long	287282633                       ; 0x111f95c9
	.long	8590725                         ; 0x831585
	.long	3575333670                      ; 0xd51b4326
	.long	1447720209                      ; 0x564a7511
	;; [unrolled: 1-line block ×11, first 2 shown]
	.long	402617261                       ; 0x17ff73ad
	.long	533488413                       ; 0x1fcc631d
	.long	3105191537                      ; 0xb9157671
	.long	768505376                       ; 0x2dce7620
	.long	298782270                       ; 0x11cf0e3e
	.long	2915553159                      ; 0xadc7cf87
	.long	2015456740                      ; 0x78216de4
	;; [unrolled: 1-line block ×10, first 2 shown]
	.long	737859212                       ; 0x2bfad68c
	.long	729503771                       ; 0x2b7b581b
	.long	3748950898                      ; 0xdf747372
	.long	2182744253                      ; 0x821a08bd
	.long	431888679                       ; 0x19be1927
	.long	2013420163                      ; 0x78025a83
	.long	373638396                       ; 0x164544fc
	.long	54545903                        ; 0x3404def
	.long	1688749940                      ; 0x64a84774
	.long	2394884334                      ; 0x8ebf08ee
	.long	675998523                       ; 0x284aeb3b
	.long	1083764681                      ; 0x4098efc9
	.long	1562965459                      ; 0x5d28f5d3
	.long	804704330                       ; 0x2ff6d04a
	;; [unrolled: 3-line block ×3, first 2 shown]
	.long	327612841                       ; 0x1386f9a9
	.long	1252226275                      ; 0x4aa374e3
	.long	935318076                       ; 0x37bfd23c
	.long	2420680216                      ; 0x9048a618
	;; [unrolled: 2-line block ×4, first 2 shown]
	.long	2101339651                      ; 0x7d3fe603
	.long	2769934879                      ; 0xa519da1f
	;; [unrolled: 1-line block ×3, first 2 shown]
	.long	651716500                       ; 0x26d86794
	.long	4115192738                      ; 0xf548dba2
	.long	112049740                       ; 0x6adbe4c
	.long	3729538641                      ; 0xde4c3e51
	.long	2910637335                      ; 0xad7ccd17
	;; [unrolled: 1-line block ×4, first 2 shown]
	.long	305695595                       ; 0x12388b6b
	.long	139360134                       ; 0x84e7786
	.long	3214531645                      ; 0xbf99dc3d
	.long	2054232851                      ; 0x7a711b13
	.long	49634692                        ; 0x2f55d84
	.long	1073828255                      ; 0x4001519f
	.long	2754746969                      ; 0xa4321a59
	;; [unrolled: 1-line block ×6, first 2 shown]
	.long	732155706                       ; 0x2ba3cf3a
	.long	988602517                       ; 0x3aece095
	.long	1539348794                      ; 0x5bc0993a
	.long	1555068617                      ; 0x5cb076c9
	;; [unrolled: 1-line block ×6, first 2 shown]
	.long	253377117                       ; 0xf1a3a5d
	.long	872273450                       ; 0x33fdd62a
	.long	3848735787                      ; 0xe5670c2b
	.long	1722560286                      ; 0x66ac2f1e
	;; [unrolled: 1-line block ×17, first 2 shown]
	.long	14843078                        ; 0xe27cc6
	.long	2614076143                      ; 0x9bcfa2ef
	.long	473288515                       ; 0x1c35cf43
	.long	826449637                       ; 0x31429ee5
	.long	2338825066                      ; 0x8b67a36a
	.long	435472225                       ; 0x19f4c761
	.long	1399711137                      ; 0x536de5a1
	.long	3068538992                      ; 0xb6e63070
	;; [unrolled: 1-line block ×3, first 2 shown]
	.long	560135209                       ; 0x2162fc29
	.long	935800607                       ; 0x37c72f1f
	.long	1940258814                      ; 0x73a5fffe
	.long	1469655183                      ; 0x5799288f
	;; [unrolled: 1-line block ×8, first 2 shown]
	.long	177901558                       ; 0xa9a8ff6
	.long	4167531389                      ; 0xf8677b7d
	.long	1375148189                      ; 0x51f7189d
	;; [unrolled: 1-line block ×7, first 2 shown]
	.long	678224549                       ; 0x286ce2a5
	.long	3831557301                      ; 0xe460ecb5
	.long	1756507633                      ; 0x68b22df1
	;; [unrolled: 1-line block ×17, first 2 shown]
	.long	331542297                       ; 0x13c2ef19
	.long	3549110380                      ; 0xd38b206c
	.long	3597797341                      ; 0xd67207dd
	;; [unrolled: 1-line block ×7, first 2 shown]
	.long	132796150                       ; 0x7ea4ef6
	.long	44327348                        ; 0x2a461b4
	.long	916910638                       ; 0x36a6f22e
	.long	961623451                       ; 0x3951359b
	.long	2427821332                      ; 0x90b59d14
	.long	1753944196                      ; 0x688b1084
	.long	1873779640                      ; 0x6faf9bb8
	.long	287282633                       ; 0x111f95c9
	.long	8590725                         ; 0x831585
	.long	1244012658                      ; 0x4a262072
	.long	1447720209                      ; 0x564a7511
	;; [unrolled: 1-line block ×11, first 2 shown]
	.long	402617261                       ; 0x17ff73ad
	.long	533488413                       ; 0x1fcc631d
	.long	3105191537                      ; 0xb9157671
	.long	768505376                       ; 0x2dce7620
	.long	1095141108                      ; 0x414686f4
	.long	2915553159                      ; 0xadc7cf87
	;; [unrolled: 1-line block ×5, first 2 shown]
	.long	337998873                       ; 0x14257419
	.long	3473761811                      ; 0xcf0d6613
	.long	3120736988                      ; 0xba02aadc
	;; [unrolled: 1-line block ×5, first 2 shown]
	.long	737859212                       ; 0x2bfad68c
	.long	729503771                       ; 0x2b7b581b
	.long	3748950898                      ; 0xdf747372
	.long	2182744253                      ; 0x821a08bd
	;; [unrolled: 1-line block ×4, first 2 shown]
	.long	373638396                       ; 0x164544fc
	.long	54545903                        ; 0x3404def
	.long	1688749940                      ; 0x64a84774
	.long	528290088                       ; 0x1f7d1128
	.long	675998523                       ; 0x284aeb3b
	.long	1083764681                      ; 0x4098efc9
	.long	1562965459                      ; 0x5d28f5d3
	.long	804704330                       ; 0x2ff6d04a
	.long	2536362875                      ; 0x972dd37b
	.long	1165431355                      ; 0x4577123b
	.long	823405282                       ; 0x31142ae2
	.long	327612841                       ; 0x1386f9a9
	.long	1252226275                      ; 0x4aa374e3
	.long	4037635314                      ; 0xf0a96cf2
	;; [unrolled: 1-line block ×3, first 2 shown]
	.long	899234846                       ; 0x35993c1e
	.long	1510586062                      ; 0x5a09b6ce
	.long	156282440                       ; 0x950ae48
	.long	2012335895                      ; 0x77f1cf17
	.long	2101339651                      ; 0x7d3fe603
	;; [unrolled: 1-line block ×4, first 2 shown]
	.long	651716500                       ; 0x26d86794
	.long	2552583570                      ; 0x98255592
	.long	112049740                       ; 0x6adbe4c
	.long	3729538641                      ; 0xde4c3e51
	.long	2910637335                      ; 0xad7ccd17
	;; [unrolled: 1-line block ×4, first 2 shown]
	.long	305695595                       ; 0x12388b6b
	.long	139360134                       ; 0x84e7786
	.long	3214531645                      ; 0xbf99dc3d
	.long	2054232851                      ; 0x7a711b13
	.long	2384286326                      ; 0x8e1d5276
	.long	1073828255                      ; 0x4001519f
	.long	2754746969                      ; 0xa4321a59
	.long	2479252980                      ; 0x93c665f4
	.long	3481787748                      ; 0xcf87dd64
	.long	1948315585                      ; 0x7420efc1
	.long	3392719169                      ; 0xca38c941
	.long	732155706                       ; 0x2ba3cf3a
	.long	988602517                       ; 0x3aece095
	.long	1539348794                      ; 0x5bc0993a
	.long	4110558494                      ; 0xf502251e
	.long	3246776527                      ; 0xc185e0cf
	.long	3753733088                      ; 0xdfbd6be0
	.long	4240766479                      ; 0xfcc4f60f
	.long	3639800790                      ; 0xd8f2f3d6
	.long	3627363812                      ; 0xd8352de4
	.long	872273450                       ; 0x33fdd62a
	.long	3848735787                      ; 0xe5670c2b
	.long	1722560286                      ; 0x66ac2f1e
	;; [unrolled: 1-line block ×17, first 2 shown]
	.long	14843078                        ; 0xe27cc6
	.long	1513897109                      ; 0x5a3c3c95
	.long	473288515                       ; 0x1c35cf43
	.long	826449637                       ; 0x31429ee5
	.long	2338825066                      ; 0x8b67a36a
	.long	435472225                       ; 0x19f4c761
	.long	322954918                       ; 0x133fe6a6
	.long	3068538992                      ; 0xb6e63070
	.long	3770340198                      ; 0xe0bad366
	.long	560135209                       ; 0x2162fc29
	.long	935800607                       ; 0x37c72f1f
	.long	345602050                       ; 0x14997802
	.long	1469655183                      ; 0x5799288f
	.long	2963586762                      ; 0xb0a4beca
	;; [unrolled: 1-line block ×7, first 2 shown]
	.long	177901558                       ; 0xa9a8ff6
	.long	4167531389                      ; 0xf8677b7d
	.long	2161244150                      ; 0x80d1f7f6
	;; [unrolled: 1-line block ×7, first 2 shown]
	.long	678224549                       ; 0x286ce2a5
	.long	3831557301                      ; 0xe460ecb5
	.long	1756507633                      ; 0x68b22df1
	.long	3160807894                      ; 0xbc6619d6
	.long	2551630811                      ; 0x9816cbdb
	.long	2884561721                      ; 0xabeeeb39
	.long	2798365898                      ; 0xa6cbacca
	.long	1544844563                      ; 0x5c147513
	.long	2294372007                      ; 0x88c156a7
	.long	2520267760                      ; 0x96383bf0
	.long	1938834658                      ; 0x739044e2
	.long	1856808621                      ; 0x6eaca6ad
	.long	2311037104                      ; 0x89bfa0b0
	.long	4294750194                      ; 0xfffcaff2
	.long	2310096003                      ; 0x89b14483
	.long	2786764913                      ; 0xa61aa871
	.long	1999195012                      ; 0x77294b84
	.long	2087890678                      ; 0x7c72aef6
	.long	331542297                       ; 0x13c2ef19
	.long	1205238749                      ; 0x47d67bdd
	.long	3597797341                      ; 0xd67207dd
	.long	3115936764                      ; 0xb9b96bfc
	.long	3670791368                      ; 0xdacbd4c8
	.long	3122901693                      ; 0xba23b2bd
	.long	2008141679                      ; 0x77b1cf6f
	.long	2018425028                      ; 0x784eb8c4
	.long	3435073328                      ; 0xccbf0f30
	.long	1452813805                      ; 0x56982ded
	.long	1628661138                      ; 0x61136592
	.long	1323367156                      ; 0x4ee0faf4
	.long	1062553693                      ; 0x3f55485d
	.long	4029321700                      ; 0xf02a91e4
	.long	2772685842                      ; 0xa543d412
	.long	3798388850                      ; 0xe266d072
	.long	1315172209                      ; 0x4e63ef71
	.long	3930983291                      ; 0xea4e0b7b
	.long	3816791373                      ; 0xe37f9d4d
	.long	529176017                       ; 0x1f8a95d1
	.long	3419610188                      ; 0xcbd31c4c
	.long	3331589216                      ; 0xc6940460
	.long	4016977274                      ; 0xef6e357a
	.long	2047089790                      ; 0x7a041c7e
	.long	3892571923                      ; 0xe803ef13
	.long	2363414008                      ; 0x8cded5f8
	.long	1144631948                      ; 0x4439b28c
	.long	3004954882                      ; 0xb31bf902
	.long	2558739305                      ; 0x98834369
	.long	19774033                        ; 0x12dba51
	.long	2525079911                      ; 0x9681a967
	.long	3774885821                      ; 0xe1002fbd
	;; [unrolled: 1-line block ×3, first 2 shown]
	.long	986111566                       ; 0x3ac6de4e
	.long	1446678953                      ; 0x563a91a9
	.long	3238485630                      ; 0xc1075e7e
	;; [unrolled: 1-line block ×15, first 2 shown]
	.long	783902023                       ; 0x2eb96547
	.long	3129770529                      ; 0xba8c8221
	.long	129130612                       ; 0x7b26074
	.long	821418228                       ; 0x30f5d8f4
	;; [unrolled: 1-line block ×3, first 2 shown]
	.long	3473671510                      ; 0xcf0c0556
	.long	4128495167                      ; 0xf613d63f
	;; [unrolled: 1-line block ×3, first 2 shown]
	.long	683262085                       ; 0x28b9c085
	.long	2143353417                      ; 0x7fc0fa49
	.long	256251732                       ; 0xf461754
	.long	1719056536                      ; 0x6676b898
	.long	2670223618                      ; 0x9f286102
	.long	328467339                       ; 0x1394038b
	.long	1564657740                      ; 0x5d42c84c
	.long	451231672                       ; 0x1ae53fb8
	;; [unrolled: 2-line block ×3, first 2 shown]
	.long	3255241056                      ; 0xc2070960
	.long	3198073758                      ; 0xbe9ebb9e
	.long	2541070985                      ; 0x9775aa89
	.long	1941509325                      ; 0x73b914cd
	.long	674933160                       ; 0x283aa9a8
	.long	207753676                       ; 0xc6211cc
	.long	2605303964                      ; 0x9b49c89c
	.long	1681335994                      ; 0x643726ba
	.long	1143520001                      ; 0x4428bb01
	.long	448872632                       ; 0x1ac140b8
	.long	302917879                       ; 0x120e28f7
	.long	1100138495                      ; 0x4192c7ff
	.long	2058770021                      ; 0x7ab65665
	;; [unrolled: 1-line block ×9, first 2 shown]
	.long	27677949                        ; 0x1a654fd
	.long	2364721928                      ; 0x8cf2cb08
	.long	175851655                       ; 0xa7b4887
	.long	1468083950                      ; 0x57812eee
	.long	3162369526                      ; 0xbc7dedf6
	;; [unrolled: 1-line block ×3, first 2 shown]
	.long	556978295                       ; 0x2132d077
	.long	2372096172                      ; 0x8d6350ac
	.long	3181101116                      ; 0xbd9bc03c
	.long	2582850132                      ; 0x99f32a54
	.long	1101292643                      ; 0x41a46463
	.long	862643740                       ; 0x336ae61c
	.long	2095546242                      ; 0x7ce77f82
	.long	3261953801                      ; 0xc26d7709
	.long	748040658                       ; 0x2c9631d2
	.long	3970037674                      ; 0xeca1f7aa
	.long	819116843                       ; 0x30d2bb2b
	.long	3594523650                      ; 0xd6401402
	.long	1597423019                      ; 0x5f36bdab
	.long	4109336883                      ; 0xf4ef8133
	.long	1198282420                      ; 0x476c56b4
	.long	2905230517                      ; 0xad2a4cb5
	.long	1729529596                      ; 0x671686fc
	.long	3230132814                      ; 0xc087ea4e
	.long	3640242164                      ; 0xd8f9aff4
	.long	1899059108                      ; 0x713157a4
	.long	1944906555                      ; 0x73eceb3b
	.long	3426510495                      ; 0xcc3c669f
	.long	3035188107                      ; 0xb4e94b8b
	.long	6448083                         ; 0x6263d3
	.long	1093882965                      ; 0x41335455
	.long	2867500469                      ; 0xaaea95b5
	;; [unrolled: 1-line block ×4, first 2 shown]
	.long	897616501                       ; 0x35808a75
	.long	604221668                       ; 0x2403b0e4
	.long	1020676159                      ; 0x3cd6483f
	.long	4083635798                      ; 0xf3675656
	.long	1716022041                      ; 0x66486b19
	.long	3671877965                      ; 0xdadc694d
	.long	1738820843                      ; 0x67a44ceb
	.long	30077467                        ; 0x1caf21b
	.long	729231767                       ; 0x2b773197
	.long	3413193248                      ; 0xcb713220
	.long	207000406                       ; 0xc569356
	.long	3854363185                      ; 0xe5bcea31
	.long	3302747326                      ; 0xc4dbecbe
	;; [unrolled: 1-line block ×4, first 2 shown]
	.long	460131091                       ; 0x1b6d0b13
	.long	4159442595                      ; 0xf7ec0ea3
	.long	1133391045                      ; 0x438e2cc5
	.long	1031215443                      ; 0x3d771953
	.long	4195487944                      ; 0xfa1210c8
	.long	45931575                        ; 0x2bcdc37
	.long	2922629291                      ; 0xae33c8ab
	.long	789302543                       ; 0x2f0bcd0f
	.long	3024994662                      ; 0xb44dc166
	.long	442525623                       ; 0x1a6067b7
	;; [unrolled: 2-line block ×3, first 2 shown]
	.long	2585361734                      ; 0x9a197d46
	.long	1020449164                      ; 0x3cd2d18c
	.long	1623631007                      ; 0x60c6a49f
	.long	955374631                       ; 0x38f1dc27
	.long	2932467671                      ; 0xaec9e7d7
	.long	3713639221                      ; 0xdd59a335
	.long	3019179416                      ; 0xb3f50598
	.long	977970472                       ; 0x3a4aa528
	;; [unrolled: 4-line block ×3, first 2 shown]
	.long	1218509766                      ; 0x48a0fbc6
	.long	4001537244                      ; 0xee829cdc
	;; [unrolled: 1-line block ×5, first 2 shown]
	.long	475291624                       ; 0x1c545fe8
	.long	1854921599                      ; 0x6e8fdb7f
	.long	2655519695                      ; 0x9e4803cf
	;; [unrolled: 1-line block ×3, first 2 shown]
	.long	319882484                       ; 0x131104f4
	.long	603545603                       ; 0x23f96003
	.long	4175512633                      ; 0xf8e14439
	.long	141286453                       ; 0x86bdc35
	.long	1183670252                      ; 0x468d5fec
	.long	1789500145                      ; 0x6aa99af1
	.long	37351733                        ; 0x239f135
	.long	3190829323                      ; 0xbe30310b
	.long	2782782009                      ; 0xa5dde239
	.long	493805446                       ; 0x1d6edf86
	.long	1228958246                      ; 0x49406a26
	.long	2672482554                      ; 0x9f4ad8fa
	;; [unrolled: 1-line block ×6, first 2 shown]
	.long	687805550                       ; 0x28ff146e
	.long	134516308                       ; 0x8048e54
	.long	3576789728                      ; 0xd5317ae0
	.long	965007022                       ; 0x3984d6ae
	.long	1056542222                      ; 0x3ef98e0e
	.long	2319405423                      ; 0x8a3f516f
	;; [unrolled: 1-line block ×3, first 2 shown]
	.long	950102624                       ; 0x38a16a60
	.long	3848192810                      ; 0xe55ec32a
	.long	3205299696                      ; 0xbf0cfdf0
	.long	82033760                        ; 0x4e3bc60
	.long	1241913280                      ; 0x4a0617c0
	.long	1360146137                      ; 0x51122ed9
	;; [unrolled: 1-line block ×17, first 2 shown]
	.long	193959252                       ; 0xb8f9554
	.long	2793509934                      ; 0xa681942e
	.long	316291605                       ; 0x12da3a15
	.long	2502743884                      ; 0x952cd74c
	.long	1963136977                      ; 0x750317d1
	;; [unrolled: 1-line block ×3, first 2 shown]
	.long	25754513                        ; 0x188fb91
	.long	1590156485                      ; 0x5ec7dcc5
	.long	1856291967                      ; 0x6ea4c47f
	;; [unrolled: 1-line block ×9, first 2 shown]
	.long	77481069                        ; 0x49e446d
	.long	789413194                       ; 0x2f0d7d4a
	.long	2556570543                      ; 0x98622baf
	.long	162987300                       ; 0x9b6fd24
	.long	1960844609                      ; 0x74e01d41
	.long	2973799047                      ; 0xb1409287
	;; [unrolled: 1-line block ×3, first 2 shown]
	.long	315868734                       ; 0x12d3c63e
	.long	2542622968                      ; 0x978d58f8
	.long	3949539136                      ; 0xeb692f40
	;; [unrolled: 1-line block ×6, first 2 shown]
	.long	847792023                       ; 0x32884797
	.long	4031286530                      ; 0xf0488d02
	.long	4194276632                      ; 0xf9ff9518
	.long	164541100                       ; 0x9ceb2ac
	.long	1010135841                      ; 0x3c357321
	.long	143302319                       ; 0x88a9eaf
	.long	1335585015                      ; 0x4f9b68f7
	.long	1237311692                      ; 0x49bfe0cc
	.long	20896020                        ; 0x13ed914
	.long	344974153                       ; 0x148fe349
	.long	2576803233                      ; 0x9996e5a1
	.long	3430251730                      ; 0xcc757cd2
	.long	984163376                       ; 0x3aa92430
	.long	2680612471                      ; 0x9fc6e677
	.long	1276425436                      ; 0x4c14b4dc
	.long	2400671554                      ; 0x8f175742
	.long	1628640140                      ; 0x6113138c
	.long	2161048926                      ; 0x80cefd5e
	.long	2109177634                      ; 0x7db77f22
	.long	998215324                       ; 0x3b7f8e9c
	.long	3127793500                      ; 0xba6e575c
	.long	1759998050                      ; 0x68e77062
	;; [unrolled: 1-line block ×9, first 2 shown]
	.long	157069329                       ; 0x95cb011
	.long	390662438                       ; 0x17490926
	.long	3800994052                      ; 0xe28e9104
	.long	2007694482                      ; 0x77aafc92
	.long	377281730                       ; 0x167cdcc2
	.long	3251789121                      ; 0xc1d25d41
	.long	236703173                       ; 0xe1bcdc5
	.long	122782596                       ; 0x7518384
	;; [unrolled: 1-line block ×3, first 2 shown]
	.long	3394010206                      ; 0xca4c7c5e
	.long	4232159202                      ; 0xfc419fe2
	.long	468321553                       ; 0x1bea0511
	.long	2704615220                      ; 0xa1352734
	.long	1332411375                      ; 0x4f6afbef
	;; [unrolled: 1-line block ×3, first 2 shown]
	.long	989230484                       ; 0x3af67594
	.long	3122841814                      ; 0xba22c8d6
	.long	2348872707                      ; 0x8c00f403
	.long	731335994                       ; 0x2b974d3a
	.long	541354422                       ; 0x204469b6
	;; [unrolled: 1-line block ×3, first 2 shown]
	.long	2225009071                      ; 0x849ef1af
	.long	4230058949                      ; 0xfc2193c5
	;; [unrolled: 1-line block ×11, first 2 shown]
	.long	64834458                        ; 0x3dd4b9a
	.long	1281467967                      ; 0x4c61a63f
	.long	729116355                       ; 0x2b756ec3
	.long	3886390916                      ; 0xe7a59e84
	.long	65029451                        ; 0x3e0454b
	.long	3478506446                      ; 0xcf55cbce
	.long	1387684482                      ; 0x52b66282
	;; [unrolled: 1-line block ×6, first 2 shown]
	.long	930937262                       ; 0x377cf9ae
	.long	1088384271                      ; 0x40df6d0f
	.long	689357059                       ; 0x2916c103
	.long	1754542213                      ; 0x68943085
	;; [unrolled: 2-line block ×3, first 2 shown]
	.long	1960202673                      ; 0x74d651b1
	.long	1009675673                      ; 0x3c2e6d99
	;; [unrolled: 1-line block ×5, first 2 shown]
	.long	9090161                         ; 0x8ab471
	.long	1854921599                      ; 0x6e8fdb7f
	.long	2655519695                      ; 0x9e4803cf
	;; [unrolled: 1-line block ×3, first 2 shown]
	.long	319882484                       ; 0x131104f4
	.long	1422536794                      ; 0x54ca305a
	.long	4175512633                      ; 0xf8e14439
	.long	141286453                       ; 0x86bdc35
	.long	1183670252                      ; 0x468d5fec
	.long	1789500145                      ; 0x6aa99af1
	;; [unrolled: 3-line block ×3, first 2 shown]
	.long	493805446                       ; 0x1d6edf86
	.long	1228958246                      ; 0x49406a26
	.long	837232655                       ; 0x31e7280f
	.long	2274981421                      ; 0x8799762d
	.long	2935438833                      ; 0xaef73df1
	;; [unrolled: 1-line block ×4, first 2 shown]
	.long	955772620                       ; 0x38f7eecc
	.long	134516308                       ; 0x8048e54
	.long	3576789728                      ; 0xd5317ae0
	.long	965007022                       ; 0x3984d6ae
	.long	1056542222                      ; 0x3ef98e0e
	;; [unrolled: 2-line block ×4, first 2 shown]
	.long	3205299696                      ; 0xbf0cfdf0
	.long	543679720                       ; 0x2067e4e8
	.long	1241913280                      ; 0x4a0617c0
	.long	1360146137                      ; 0x51122ed9
	;; [unrolled: 1-line block ×17, first 2 shown]
	.long	193959252                       ; 0xb8f9554
	.long	2793509934                      ; 0xa681942e
	.long	4258046618                      ; 0xfdcca29a
	.long	2502743884                      ; 0x952cd74c
	.long	1963136977                      ; 0x750317d1
	.long	3739017448                      ; 0xdedce0e8
	.long	25754513                        ; 0x188fb91
	.long	1204846712                      ; 0x47d08078
	.long	1856291967                      ; 0x6ea4c47f
	;; [unrolled: 1-line block ×9, first 2 shown]
	.long	77481069                        ; 0x49e446d
	.long	969912041                       ; 0x39cfaee9
	.long	2556570543                      ; 0x98622baf
	.long	162987300                       ; 0x9b6fd24
	.long	1960844609                      ; 0x74e01d41
	.long	2973799047                      ; 0xb1409287
	.long	427583517                       ; 0x197c681d
	.long	315868734                       ; 0x12d3c63e
	.long	2542622968                      ; 0x978d58f8
	.long	3949539136                      ; 0xeb692f40
	;; [unrolled: 1-line block ×3, first 2 shown]
	.long	92839917                        ; 0x5889fed
	.long	1235059630                      ; 0x499d83ae
	.long	1533374854                      ; 0x5b657186
	.long	847792023                       ; 0x32884797
	.long	4031286530                      ; 0xf0488d02
	.long	1147875681                      ; 0x446b3161
	.long	164541100                       ; 0x9ceb2ac
	.long	1010135841                      ; 0x3c357321
	.long	143302319                       ; 0x88a9eaf
	;; [unrolled: 2-line block ×3, first 2 shown]
	.long	20896020                        ; 0x13ed914
	.long	344974153                       ; 0x148fe349
	.long	2576803233                      ; 0x9996e5a1
	.long	3430251730                      ; 0xcc757cd2
	;; [unrolled: 1-line block ×9, first 2 shown]
	.long	998215324                       ; 0x3b7f8e9c
	.long	3127793500                      ; 0xba6e575c
	.long	1759998050                      ; 0x68e77062
	.long	3525419965                      ; 0xd221a3bd
	.long	2583746384                      ; 0x9a00d750
	.long	2126302368                      ; 0x7ebccca0
	.long	3258602104                      ; 0xc23a5278
	.long	1262742375                      ; 0x4b43eb67
	.long	1996113346                      ; 0x76fa45c2
	.long	3726060195                      ; 0xde172aa3
	.long	157069329                       ; 0x95cb011
	.long	390662438                       ; 0x17490926
	.long	3800994052                      ; 0xe28e9104
	.long	982000497                       ; 0x3a882371
	.long	377281730                       ; 0x167cdcc2
	.long	3251789121                      ; 0xc1d25d41
	;; [unrolled: 3-line block ×3, first 2 shown]
	.long	3394010206                      ; 0xca4c7c5e
	.long	4232159202                      ; 0xfc419fe2
	.long	468321553                       ; 0x1bea0511
	.long	2704615220                      ; 0xa1352734
	.long	681592492                       ; 0x28a046ac
	;; [unrolled: 2-line block ×3, first 2 shown]
	.long	3122841814                      ; 0xba22c8d6
	.long	2348872707                      ; 0x8c00f403
	;; [unrolled: 1-line block ×3, first 2 shown]
	.long	541354422                       ; 0x204469b6
	.long	223117443                       ; 0xd4c8083
	.long	2225009071                      ; 0x849ef1af
	.long	4230058949                      ; 0xfc2193c5
	;; [unrolled: 1-line block ×7, first 2 shown]
	.long	668143612                       ; 0x27d30ffc
	.long	1378024753                      ; 0x5222fd31
	.long	3686775275                      ; 0xdbbfb9eb
	;; [unrolled: 1-line block ×3, first 2 shown]
	.long	64834458                        ; 0x3dd4b9a
	.long	3765910650                      ; 0xe0773c7a
	.long	729116355                       ; 0x2b756ec3
	.long	3886390916                      ; 0xe7a59e84
	.long	65029451                        ; 0x3e0454b
	.long	3478506446                      ; 0xcf55cbce
	.long	3419111947                      ; 0xcbcb820b
	;; [unrolled: 1-line block ×6, first 2 shown]
	.long	155635560                       ; 0x946cf68
	.long	1088384271                      ; 0x40df6d0f
	.long	689357059                       ; 0x2916c103
	.long	1754542213                      ; 0x68943085
	;; [unrolled: 2-line block ×3, first 2 shown]
	.long	1960202673                      ; 0x74d651b1
	.long	1009675673                      ; 0x3c2e6d99
	;; [unrolled: 1-line block ×4, first 2 shown]
	.long	129749802                       ; 0x7bbd32a
	.long	9090161                         ; 0x8ab471
	.long	1854921599                      ; 0x6e8fdb7f
	.long	2655519695                      ; 0x9e4803cf
	;; [unrolled: 1-line block ×3, first 2 shown]
	.long	809557750                       ; 0x3040def6
	.long	1422536794                      ; 0x54ca305a
	.long	4175512633                      ; 0xf8e14439
	.long	141286453                       ; 0x86bdc35
	.long	1183670252                      ; 0x468d5fec
	.long	1739311360                      ; 0x67abc900
	.long	850391877                       ; 0x32aff345
	.long	3190829323                      ; 0xbe30310b
	.long	2782782009                      ; 0xa5dde239
	.long	493805446                       ; 0x1d6edf86
	.long	1738527771                      ; 0x679fd41b
	.long	837232655                       ; 0x31e7280f
	.long	2274981421                      ; 0x8799762d
	.long	2935438833                      ; 0xaef73df1
	;; [unrolled: 1-line block ×4, first 2 shown]
	.long	955772620                       ; 0x38f7eecc
	.long	134516308                       ; 0x8048e54
	.long	3576789728                      ; 0xd5317ae0
	.long	965007022                       ; 0x3984d6ae
	.long	3367712327                      ; 0xc8bb3647
	;; [unrolled: 2-line block ×4, first 2 shown]
	.long	2420548306                      ; 0x9046a2d2
	.long	543679720                       ; 0x2067e4e8
	.long	1241913280                      ; 0x4a0617c0
	.long	1360146137                      ; 0x51122ed9
	;; [unrolled: 1-line block ×3, first 2 shown]
	.long	176019367                       ; 0xa7dd7a7
	.long	1169030022                      ; 0x45adfb86
	.long	2226452641                      ; 0x84b4f8a1
	;; [unrolled: 1-line block ×4, first 2 shown]
	.long	76544055                        ; 0x48ff837
	.long	3783543297                      ; 0xe1844a01
	.long	2030783667                      ; 0x790b4cb3
	.long	2237381973                      ; 0x855bbd55
	.long	2706217212                      ; 0xa14d98fc
	.long	3283985735                      ; 0xc3bda547
	.long	1560162209                      ; 0x5cfe2fa1
	.long	1166820137                      ; 0x458c4329
	.long	3818389960                      ; 0xe39801c8
	.long	193959252                       ; 0xb8f9554
	.long	346134252                       ; 0x14a196ec
	.long	4258046618                      ; 0xfdcca29a
	.long	2502743884                      ; 0x952cd74c
	;; [unrolled: 1-line block ×9, first 2 shown]
	.long	366578749                       ; 0x15d98c3d
	.long	3889946075                      ; 0xe7dbdddb
	.long	3303325234                      ; 0xc4e4be32
	;; [unrolled: 1-line block ×5, first 2 shown]
	.long	969912041                       ; 0x39cfaee9
	.long	2556570543                      ; 0x98622baf
	.long	162987300                       ; 0x9b6fd24
	.long	1960844609                      ; 0x74e01d41
	.long	61311938                        ; 0x3a78bc2
	.long	427583517                       ; 0x197c681d
	.long	315868734                       ; 0x12d3c63e
	.long	2542622968                      ; 0x978d58f8
	.long	3949539136                      ; 0xeb692f40
	;; [unrolled: 1-line block ×3, first 2 shown]
	.long	92839917                        ; 0x5889fed
	.long	1235059630                      ; 0x499d83ae
	.long	1533374854                      ; 0x5b657186
	.long	847792023                       ; 0x32884797
	.long	1361054176                      ; 0x512009e0
	.long	1147875681                      ; 0x446b3161
	.long	164541100                       ; 0x9ceb2ac
	.long	1010135841                      ; 0x3c357321
	.long	143302319                       ; 0x88a9eaf
	;; [unrolled: 2-line block ×3, first 2 shown]
	.long	20896020                        ; 0x13ed914
	.long	344974153                       ; 0x148fe349
	.long	2576803233                      ; 0x9996e5a1
	.long	3290873783                      ; 0xc426bfb7
	;; [unrolled: 1-line block ×6, first 2 shown]
	.long	628790408                       ; 0x257a9488
	.long	4149623645                      ; 0xf7563b5d
	.long	2109177634                      ; 0x7db77f22
	.long	998215324                       ; 0x3b7f8e9c
	.long	3127793500                      ; 0xba6e575c
	.long	2019336900                      ; 0x785ca2c4
	.long	3525419965                      ; 0xd221a3bd
	.long	2583746384                      ; 0x9a00d750
	.long	2126302368                      ; 0x7ebccca0
	.long	3258602104                      ; 0xc23a5278
	.long	2858154034                      ; 0xaa5bf832
	.long	1996113346                      ; 0x76fa45c2
	.long	3726060195                      ; 0xde172aa3
	.long	157069329                       ; 0x95cb011
	.long	390662438                       ; 0x17490926
	.long	2250549235                      ; 0x8624a7f3
	.long	982000497                       ; 0x3a882371
	.long	377281730                       ; 0x167cdcc2
	.long	3251789121                      ; 0xc1d25d41
	.long	236703173                       ; 0xe1bcdc5
	.long	3487415996                      ; 0xcfddbebc
	.long	2303768414                      ; 0x8950b75e
	;; [unrolled: 1-line block ×4, first 2 shown]
	.long	468321553                       ; 0x1bea0511
	.long	2773608982                      ; 0xa551ea16
	.long	681592492                       ; 0x28a046ac
	.long	2978494251                      ; 0xb188372b
	;; [unrolled: 2-line block ×3, first 2 shown]
	.long	3647638215                      ; 0xd96a8ac7
	.long	4089094260                      ; 0xf3baa074
	.long	541354422                       ; 0x204469b6
	.long	223117443                       ; 0xd4c8083
	.long	2225009071                      ; 0x849ef1af
	.long	2829509947                      ; 0xa8a6e53b
	.long	2754981128                      ; 0xa435ad08
	.long	3897048544                      ; 0xe8483de0
	.long	3550177883                      ; 0xd39b6a5b
	.long	2461273592                      ; 0x92b40df8
	.long	282627696                       ; 0x10d88e70
	.long	668143612                       ; 0x27d30ffc
	.long	1378024753                      ; 0x5222fd31
	.long	3686775275                      ; 0xdbbfb9eb
	;; [unrolled: 1-line block ×5, first 2 shown]
	.long	729116355                       ; 0x2b756ec3
	.long	3886390916                      ; 0xe7a59e84
	.long	65029451                        ; 0x3e0454b
	.long	328554604                       ; 0x1395586c
	.long	3419111947                      ; 0xcbcb820b
	.long	1172004841                      ; 0x45db5fe9
	;; [unrolled: 1-line block ×5, first 2 shown]
	.long	155635560                       ; 0x946cf68
	.long	1088384271                      ; 0x40df6d0f
	.long	689357059                       ; 0x2916c103
	.long	1754542213                      ; 0x68943085
	.long	1076601715                      ; 0x402ba373
	;; [unrolled: 1-line block ×7, first 2 shown]
	.long	129749802                       ; 0x7bbd32a
	.long	9090161                         ; 0x8ab471
	.long	1854921599                      ; 0x6e8fdb7f
	.long	2655519695                      ; 0x9e4803cf
	;; [unrolled: 1-line block ×3, first 2 shown]
	.long	809557750                       ; 0x3040def6
	.long	1422536794                      ; 0x54ca305a
	.long	4175512633                      ; 0xf8e14439
	.long	141286453                       ; 0x86bdc35
	.long	2211497169                      ; 0x83d0c4d1
	.long	1739311360                      ; 0x67abc900
	;; [unrolled: 3-line block ×3, first 2 shown]
	.long	2694871802                      ; 0xa0a07afa
	.long	1738527771                      ; 0x679fd41b
	.long	837232655                       ; 0x31e7280f
	.long	2274981421                      ; 0x8799762d
	.long	2935438833                      ; 0xaef73df1
	;; [unrolled: 1-line block ×4, first 2 shown]
	.long	955772620                       ; 0x38f7eecc
	.long	134516308                       ; 0x8048e54
	.long	3576789728                      ; 0xd5317ae0
	.long	4045354759                      ; 0xf11f3707
	;; [unrolled: 1-line block ×3, first 2 shown]
	.long	874117013                       ; 0x3419f795
	.long	3944221200                      ; 0xeb180a10
	.long	950102624                       ; 0x38a16a60
	.long	3562634568                      ; 0xd4597d48
	.long	2420548306                      ; 0x9046a2d2
	.long	543679720                       ; 0x2067e4e8
	.long	1241913280                      ; 0x4a0617c0
	.long	1360146137                      ; 0x51122ed9
	;; [unrolled: 1-line block ×3, first 2 shown]
	.long	176019367                       ; 0xa7dd7a7
	.long	1169030022                      ; 0x45adfb86
	.long	2226452641                      ; 0x84b4f8a1
	.long	3172047212                      ; 0xbd11996c
	.long	3927720006                      ; 0xea1c4046
	.long	76544055                        ; 0x48ff837
	.long	3783543297                      ; 0xe1844a01
	.long	2030783667                      ; 0x790b4cb3
	;; [unrolled: 1-line block ×9, first 2 shown]
	.long	346134252                       ; 0x14a196ec
	.long	4258046618                      ; 0xfdcca29a
	.long	2502743884                      ; 0x952cd74c
	;; [unrolled: 1-line block ×3, first 2 shown]
	.long	79988846                        ; 0x4c4886e
	.long	3887005605                      ; 0xe7aeffa5
	.long	1204846712                      ; 0x47d08078
	;; [unrolled: 1-line block ×5, first 2 shown]
	.long	366578749                       ; 0x15d98c3d
	.long	3889946075                      ; 0xe7dbdddb
	.long	3303325234                      ; 0xc4e4be32
	;; [unrolled: 1-line block ×5, first 2 shown]
	.long	969912041                       ; 0x39cfaee9
	.long	2556570543                      ; 0x98622baf
	.long	162987300                       ; 0x9b6fd24
	.long	52882655                        ; 0x326ecdf
	.long	61311938                        ; 0x3a78bc2
	.long	427583517                       ; 0x197c681d
	.long	315868734                       ; 0x12d3c63e
	.long	2542622968                      ; 0x978d58f8
	.long	1575831590                      ; 0x5ded4826
	;; [unrolled: 1-line block ×3, first 2 shown]
	.long	92839917                        ; 0x5889fed
	.long	1235059630                      ; 0x499d83ae
	.long	1533374854                      ; 0x5b657186
	;; [unrolled: 1-line block ×5, first 2 shown]
	.long	164541100                       ; 0x9ceb2ac
	.long	1010135841                      ; 0x3c357321
	.long	2586368032                      ; 0x9a28d820
	;; [unrolled: 1-line block ×3, first 2 shown]
	.long	368616909                       ; 0x15f8a5cd
	.long	20896020                        ; 0x13ed914
	.long	344974153                       ; 0x148fe349
	.long	3445652232                      ; 0xcd607b08
	.long	3290873783                      ; 0xc426bfb7
	.long	1078575783                      ; 0x4049c2a7
	.long	2680612471                      ; 0x9fc6e677
	.long	1276425436                      ; 0x4c14b4dc
	.long	3682156544                      ; 0xdb794000
	.long	628790408                       ; 0x257a9488
	.long	4149623645                      ; 0xf7563b5d
	.long	2109177634                      ; 0x7db77f22
	.long	998215324                       ; 0x3b7f8e9c
	.long	4049708298                      ; 0xf161a50a
	.long	2019336900                      ; 0x785ca2c4
	;; [unrolled: 1-line block ×9, first 2 shown]
	.long	157069329                       ; 0x95cb011
	.long	1481222640                      ; 0x5849a9f0
	.long	2250549235                      ; 0x8624a7f3
	.long	982000497                       ; 0x3a882371
	.long	377281730                       ; 0x167cdcc2
	.long	3251789121                      ; 0xc1d25d41
	.long	3564274539                      ; 0xd472836b
	;; [unrolled: 1-line block ×8, first 2 shown]
	.long	681592492                       ; 0x28a046ac
	.long	2978494251                      ; 0xb188372b
	.long	989230484                       ; 0x3af67594
	.long	980252048                       ; 0x3a6d7590
	.long	3647638215                      ; 0xd96a8ac7
	.long	4089094260                      ; 0xf3baa074
	.long	541354422                       ; 0x204469b6
	.long	223117443                       ; 0xd4c8083
	;; [unrolled: 1-line block ×3, first 2 shown]
	.long	2829509947                      ; 0xa8a6e53b
	.long	2754981128                      ; 0xa435ad08
	;; [unrolled: 1-line block ×5, first 2 shown]
	.long	282627696                       ; 0x10d88e70
	.long	668143612                       ; 0x27d30ffc
	.long	1378024753                      ; 0x5222fd31
	.long	3686775275                      ; 0xdbbfb9eb
	;; [unrolled: 1-line block ×5, first 2 shown]
	.long	729116355                       ; 0x2b756ec3
	.long	3886390916                      ; 0xe7a59e84
	.long	1866378660                      ; 0x6f3eada4
	.long	328554604                       ; 0x1395586c
	.long	3419111947                      ; 0xcbcb820b
	.long	1172004841                      ; 0x45db5fe9
	;; [unrolled: 1-line block ×5, first 2 shown]
	.long	155635560                       ; 0x946cf68
	.long	1088384271                      ; 0x40df6d0f
	.long	689357059                       ; 0x2916c103
	.long	3587092123                      ; 0xd5ceae9b
	.long	1076601715                      ; 0x402ba373
	;; [unrolled: 1-line block ×11, first 2 shown]
	.long	684559293                       ; 0x28cd8bbd
	.long	3520611957                      ; 0xd1d84675
	.long	2976084366                      ; 0xb163718e
	;; [unrolled: 1-line block ×7, first 2 shown]
	.long	820829188                       ; 0x30ecdc04
	.long	1382783871                      ; 0x526b9b7f
	.long	3373481539                      ; 0xc9133e43
	;; [unrolled: 1-line block ×3, first 2 shown]
	.long	266942530                       ; 0xfe93842
	.long	1792334422                      ; 0x6ad4da56
	.long	4109859515                      ; 0xf4f77abb
	;; [unrolled: 1-line block ×4, first 2 shown]
	.long	623893785                       ; 0x252fdd19
	.long	1301686542                      ; 0x4d96290e
	.long	441704877                       ; 0x1a53e1ad
	.long	3377795902                      ; 0xc955133e
	.long	879822753                       ; 0x347107a1
	.long	329462927                       ; 0x13a3348f
	;; [unrolled: 1-line block ×3, first 2 shown]
	.long	2221828617                      ; 0x846e6a09
	.long	2996486613                      ; 0xb29ac1d5
	.long	981774202                       ; 0x3a84af7a
	.long	1032220084                      ; 0x3d866db4
	.long	1066536452                      ; 0x3f920e04
	;; [unrolled: 1-line block ×7, first 2 shown]
	.long	418696462                       ; 0x18f4cd0e
	.long	1776559103                      ; 0x69e423ff
	.long	1291965608                      ; 0x4d01d4a8
	;; [unrolled: 1-line block ×4, first 2 shown]
	.long	572114324                       ; 0x2219c594
	.long	899621592                       ; 0x359f22d8
	.long	332121275                       ; 0x13cbc4bb
	.long	3637616671                      ; 0xd8d1a01f
	.long	457287722                       ; 0x1b41a82a
	.long	3803043476                      ; 0xe2add694
	.long	408472701                       ; 0x1858cc7d
	.long	660940326                       ; 0x27652626
	.long	1209169008                      ; 0x48127470
	.long	1202511620                      ; 0x47acdf04
	;; [unrolled: 1-line block ×8, first 2 shown]
	.long	543821664                       ; 0x206a0f60
	.long	3426280682                      ; 0xcc38e4ea
	.long	1337602255                      ; 0x4fba30cf
	;; [unrolled: 1-line block ×7, first 2 shown]
	.long	673341051                       ; 0x28225e7b
	.long	1900184720                      ; 0x71428490
	.long	731675831                       ; 0x2b9c7cb7
	.long	2461790412                      ; 0x92bbf0cc
	.long	2593291320                      ; 0x9a927c38
	;; [unrolled: 1-line block ×3, first 2 shown]
	.long	863529987                       ; 0x33786c03
	.long	91627443                        ; 0x5761fb3
	.long	2437824309                      ; 0x914e3f35
	.long	2834231475                      ; 0xa8eef0b3
	;; [unrolled: 1-line block ×7, first 2 shown]
	.long	806676270                       ; 0x3014e72e
	.long	703274107                       ; 0x29eb1c7b
	.long	3756759580                      ; 0xdfeb9a1c
	.long	674737904                       ; 0x2837aef0
	.long	912015048                       ; 0x365c3ec8
	.long	1823306025                      ; 0x6cad7129
	.long	1509430520                      ; 0x59f814f8
	.long	3128952761                      ; 0xba8007b9
	.long	290841833                       ; 0x1155e4e9
	.long	3917789380                      ; 0xe984b8c4
	.long	1022040580                      ; 0x3ceb1a04
	;; [unrolled: 1-line block ×3, first 2 shown]
	.long	334998864                       ; 0x13f7ad50
	.long	1009274987                      ; 0x3c28506b
	.long	310979037                       ; 0x128929dd
	.long	606749827                       ; 0x242a4483
	.long	546291081                       ; 0x208fbd89
	.long	3438438313                      ; 0xccf267a9
	.long	1840081424                      ; 0x6dad6a10
	;; [unrolled: 1-line block ×6, first 2 shown]
	.long	194196981                       ; 0xb9335f5
	.long	1540331253                      ; 0x5bcf96f5
	.long	3135937654                      ; 0xbaea9c76
	.long	773351497                       ; 0x2e186849
	.long	1878220007                      ; 0x6ff35ce7
	.long	3097009802                      ; 0xb8989e8a
	;; [unrolled: 1-line block ×5, first 2 shown]
	.long	178612659                       ; 0xaa569b3
	.long	3656860395                      ; 0xd9f742eb
	.long	1259606652                      ; 0x4b14127c
	;; [unrolled: 1-line block ×3, first 2 shown]
	.long	488406826                       ; 0x1d1c7f2a
	.long	3640897405                      ; 0xd903af7d
	.long	3419000480                      ; 0xcbc9cea0
	.long	353909713                       ; 0x15183bd1
	.long	2996208477                      ; 0xb296835d
	.long	2862593073                      ; 0xaa9fb431
	.long	108483327                       ; 0x67752ff
	.long	648472258                       ; 0x26a6e6c2
	.long	1060249632                      ; 0x3f322020
	.long	1049865483                      ; 0x3e93ad0b
	.long	430087518                       ; 0x19a29d5e
	.long	1364157854                      ; 0x514f659e
	.long	3367631180                      ; 0xc8b9f94c
	.long	251313827                       ; 0xefabea3
	.long	2374149836                      ; 0x8d82a6cc
	.long	2109357086                      ; 0x7dba3c1e
	.long	479172068                       ; 0x1c8f95e4
	.long	464775113                       ; 0x1bb3e7c9
	.long	1806677787                      ; 0x6bafb71b
	.long	3488082411                      ; 0xcfe7e9eb
	.long	356035738                       ; 0x1538ac9a
	.long	3080424395                      ; 0xb79b8bcb
	.long	4134646749                      ; 0xf671b3dd
	;; [unrolled: 3-line block ×3, first 2 shown]
	.long	4189798138                      ; 0xf9bb3efa
	.long	3928909462                      ; 0xea2e6696
	.long	568714397                       ; 0x21e5e49d
	.long	1681832820                      ; 0x643ebb74
	.long	1753328641                      ; 0x6881ac01
	.long	827357673                       ; 0x315079e9
	;; [unrolled: 3-line block ×3, first 2 shown]
	.long	3257553606                      ; 0xc22a52c6
	.long	400882781                       ; 0x17e4fc5d
	.long	1473208110                      ; 0x57cf5f2e
	.long	4134183873                      ; 0xf66aa3c1
	.long	2193420912                      ; 0x82bcf270
	.long	2483976489                      ; 0x940e7929
	.long	2790651795                      ; 0xa655f793
	.long	3298324523                      ; 0xc498702b
	.long	3508205426                      ; 0xd11af772
	.long	2236819708                      ; 0x855328fc
	.long	917494217                       ; 0x36afd9c9
	.long	769620837                       ; 0x2ddf7b65
	.long	3411018785                      ; 0xcb500421
	.long	2391335000                      ; 0x8e88e058
	;; [unrolled: 1-line block ×9, first 2 shown]
	.long	537787012                       ; 0x200dfa84
	.long	4271656840                      ; 0xfe9c4f88
	.long	185820273                       ; 0xb136471
	.long	1160533598                      ; 0x452c565e
	.long	1862365049                      ; 0x6f016f79
	;; [unrolled: 1-line block ×6, first 2 shown]
	.long	524666025                       ; 0x1f45c4a9
	.long	3645751565                      ; 0xd94dc10d
	.long	2415020247                      ; 0x8ff248d7
	;; [unrolled: 1-line block ×6, first 2 shown]
	.long	562446539                       ; 0x218640cb
	.long	750696587                       ; 0x2cbeb88b
	.long	97137475                        ; 0x5ca3343
	.long	3894066051                      ; 0xe81abb83
	.long	2239638596                      ; 0x857e2c44
	;; [unrolled: 1-line block ×4, first 2 shown]
	.long	774947039                       ; 0x2e30c0df
	.long	451287677                       ; 0x1ae61a7d
	.long	3618957054                      ; 0xd7b4e6fe
	.long	4236303539                      ; 0xfc80dcb3
	;; [unrolled: 1-line block ×4, first 2 shown]
	.long	498574915                       ; 0x1db7a643
	.long	2164122779                      ; 0x80fde49b
	.long	582902291                       ; 0x22be6213
	.long	3040883311                      ; 0xb540326f
	.long	1626221455                      ; 0x60ee2b8f
	.long	1853378                         ; 0x1c47c2
	.long	2125490000                      ; 0x7eb06750
	.long	3185055972                      ; 0xbdd818e4
	;; [unrolled: 1-line block ×3, first 2 shown]
	.long	432884530                       ; 0x19cd4b32
	.long	779476209                       ; 0x2e75dcf1
	;; [unrolled: 1-line block ×3, first 2 shown]
	.long	2488937128                      ; 0x945a2aa8
	.long	2521389012                      ; 0x964957d4
	.long	107485781                       ; 0x6681a55
	.long	2873055013                      ; 0xab3f5725
	.long	1171872946                      ; 0x45d95cb2
	;; [unrolled: 1-line block ×4, first 2 shown]
	.long	646240524                       ; 0x2684d90c
	.long	3970896645                      ; 0xecaf1305
	.long	942009076                       ; 0x3825eaf4
	.long	4069926418                      ; 0xf2962612
	.long	3129385884                      ; 0xba86a39c
	;; [unrolled: 1-line block ×3, first 2 shown]
	.long	388702536                       ; 0x172b2148
	.long	450999415                       ; 0x1ae1b477
	.long	2995728716                      ; 0xb28f314c
	.long	1687173264                      ; 0x64903890
	;; [unrolled: 1-line block ×4, first 2 shown]
	.long	190663705                       ; 0xb5d4c19
	.long	486809970                       ; 0x1d042172
	;; [unrolled: 1-line block ×3, first 2 shown]
	.long	2421764946                      ; 0x90593352
	.long	2941043524                      ; 0xaf4cc344
	;; [unrolled: 1-line block ×3, first 2 shown]
	.long	119077561                       ; 0x718fab9
	.long	1801381572                      ; 0x6b5ee6c4
	.long	2208680167                      ; 0x83a5c8e7
	;; [unrolled: 1-line block ×3, first 2 shown]
	.long	9899015                         ; 0x970c07
	.long	2455199230                      ; 0x92575dfe
	.long	3755314209                      ; 0xdfd58c21
	;; [unrolled: 1-line block ×6, first 2 shown]
	.long	821846618                       ; 0x30fc625a
	.long	2790899812                      ; 0xa659c064
	.long	863647562                       ; 0x337a374a
	.long	629585032                       ; 0x2586b488
	;; [unrolled: 1-line block ×3, first 2 shown]
	.long	1190540209                      ; 0x46f633b1
	.long	57251233                        ; 0x36995a1
	.long	2109551995                      ; 0x7dbd357b
	.long	2294881622                      ; 0x88c91d56
	;; [unrolled: 1-line block ×4, first 2 shown]
	.long	123838650                       ; 0x761a0ba
	.long	3436270690                      ; 0xccd15462
	.long	1637121394                      ; 0x61947d72
	;; [unrolled: 1-line block ×3, first 2 shown]
	.long	954001192                       ; 0x38dce728
	.long	759760236                       ; 0x2d49056c
	.long	3268295908                      ; 0xc2ce3ce4
	.long	2313083096                      ; 0x89ded8d8
	.long	630164216                       ; 0x258f8af8
	.long	2367213191                      ; 0x8d18ce87
	.long	3992059381                      ; 0xedf1fdf5
	;; [unrolled: 1-line block ×5, first 2 shown]
	.long	527547730                       ; 0x1f71bd52
	.long	1222399440                      ; 0x48dc55d0
	.long	1515078401                      ; 0x5a4e4301
	;; [unrolled: 1-line block ×3, first 2 shown]
	.long	645585788                       ; 0x267adb7c
	.long	2256370254                      ; 0x867d7a4e
	.long	3057235502                      ; 0xb639b62e
	;; [unrolled: 1-line block ×4, first 2 shown]
	.long	333440916                       ; 0x13dfe794
	.long	1873686678                      ; 0x6fae3096
	.long	2489794553                      ; 0x94673ff9
	;; [unrolled: 1-line block ×9, first 2 shown]
	.long	41030733                        ; 0x272144d
	.long	183716455                       ; 0xaf34a67
	.long	36316501                        ; 0x22a2555
	.long	1430796327                      ; 0x55483827
	.long	1884066707                      ; 0x704c9393
	;; [unrolled: 1-line block ×5, first 2 shown]
	.long	535070834                       ; 0x1fe48872
	.long	3873372533                      ; 0xe6def975
	.long	175757671                       ; 0xa79d967
	.long	3414803303                      ; 0xcb89c367
	;; [unrolled: 2-line block ×3, first 2 shown]
	.long	2950895946                      ; 0xafe3194a
	.long	977680845                       ; 0x3a4639cd
	.long	4224715886                      ; 0xfbd00c6e
	.long	2809442211                      ; 0xa774afa3
	;; [unrolled: 1-line block ×5, first 2 shown]
	.long	969203959                       ; 0x39c4e0f7
	.long	2539482914                      ; 0x975d6f22
	.long	813880136                       ; 0x3082d348
	.long	2483976489                      ; 0x940e7929
	.long	2790651795                      ; 0xa655f793
	;; [unrolled: 1-line block ×4, first 2 shown]
	.long	49280479                        ; 0x2eff5df
	.long	917494217                       ; 0x36afd9c9
	.long	769620837                       ; 0x2ddf7b65
	.long	3411018785                      ; 0xcb500421
	.long	2391335000                      ; 0x8e88e058
	;; [unrolled: 1-line block ×9, first 2 shown]
	.long	537787012                       ; 0x200dfa84
	.long	4271656840                      ; 0xfe9c4f88
	.long	185820273                       ; 0xb136471
	.long	2622722506                      ; 0x9c5391ca
	.long	1862365049                      ; 0x6f016f79
	;; [unrolled: 1-line block ×6, first 2 shown]
	.long	524666025                       ; 0x1f45c4a9
	.long	3645751565                      ; 0xd94dc10d
	.long	2415020247                      ; 0x8ff248d7
	;; [unrolled: 1-line block ×6, first 2 shown]
	.long	562446539                       ; 0x218640cb
	.long	750696587                       ; 0x2cbeb88b
	;; [unrolled: 1-line block ×3, first 2 shown]
	.long	3894066051                      ; 0xe81abb83
	.long	2239638596                      ; 0x857e2c44
	;; [unrolled: 1-line block ×5, first 2 shown]
	.long	451287677                       ; 0x1ae61a7d
	.long	3618957054                      ; 0xd7b4e6fe
	.long	4236303539                      ; 0xfc80dcb3
	.long	1027744929                      ; 0x3d4224a1
	.long	1724964245                      ; 0x66d0dd95
	.long	498574915                       ; 0x1db7a643
	.long	2164122779                      ; 0x80fde49b
	.long	582902291                       ; 0x22be6213
	.long	3040883311                      ; 0xb540326f
	.long	3101287841                      ; 0xb8d9e5a1
	.long	1853378                         ; 0x1c47c2
	.long	2125490000                      ; 0x7eb06750
	.long	3185055972                      ; 0xbdd818e4
	;; [unrolled: 1-line block ×4, first 2 shown]
	.long	779476209                       ; 0x2e75dcf1
	.long	124284956                       ; 0x768701c
	.long	2488937128                      ; 0x945a2aa8
	.long	2521389012                      ; 0x964957d4
	.long	338597864                       ; 0x142e97e8
	.long	2873055013                      ; 0xab3f5725
	.long	1171872946                      ; 0x45d95cb2
	;; [unrolled: 1-line block ×6, first 2 shown]
	.long	942009076                       ; 0x3825eaf4
	.long	4069926418                      ; 0xf2962612
	.long	3129385884                      ; 0xba86a39c
	;; [unrolled: 1-line block ×3, first 2 shown]
	.long	388702536                       ; 0x172b2148
	.long	450999415                       ; 0x1ae1b477
	.long	2995728716                      ; 0xb28f314c
	.long	1687173264                      ; 0x64903890
	.long	157685189                       ; 0x96615c5
	.long	2648078738                      ; 0x9dd67992
	.long	190663705                       ; 0xb5d4c19
	.long	486809970                       ; 0x1d042172
	;; [unrolled: 1-line block ×4, first 2 shown]
	.long	2941043524                      ; 0xaf4cc344
	.long	3841512738                      ; 0xe4f8d522
	.long	119077561                       ; 0x718fab9
	.long	1801381572                      ; 0x6b5ee6c4
	.long	2668625968                      ; 0x9f100030
	;; [unrolled: 1-line block ×3, first 2 shown]
	.long	9899015                         ; 0x970c07
	.long	2455199230                      ; 0x92575dfe
	.long	3755314209                      ; 0xdfd58c21
	.long	2699515741                      ; 0xa0e7575d
	.long	3846398898                      ; 0xe54363b2
	.long	1405136244                      ; 0x53c0ad74
	.long	2870563334                      ; 0xab195206
	.long	821846618                       ; 0x30fc625a
	.long	505633792                       ; 0x1e235c00
	.long	863647562                       ; 0x337a374a
	.long	629585032                       ; 0x2586b488
	.long	958925512                       ; 0x39280ac8
	.long	1190540209                      ; 0x46f633b1
	.long	2067402799                      ; 0x7b3a102f
	;; [unrolled: 1-line block ×10, first 2 shown]
	.long	954001192                       ; 0x38dce728
	.long	3206166733                      ; 0xbf1a38cd
	.long	3268295908                      ; 0xc2ce3ce4
	;; [unrolled: 1-line block ×3, first 2 shown]
	.long	630164216                       ; 0x258f8af8
	.long	2367213191                      ; 0x8d18ce87
	.long	3007494680                      ; 0xb342ba18
	.long	3292952769                      ; 0xc44678c1
	.long	2040774258                      ; 0x79a3be72
	.long	1420209005                      ; 0x54a6ab6d
	.long	527547730                       ; 0x1f71bd52
	.long	4047406592                      ; 0xf13e8600
	.long	1515078401                      ; 0x5a4e4301
	;; [unrolled: 1-line block ×3, first 2 shown]
	.long	645585788                       ; 0x267adb7c
	.long	2256370254                      ; 0x867d7a4e
	.long	13805572                        ; 0xd2a804
	.long	2870727428                      ; 0xab1bd304
	.long	2785498804                      ; 0xa60756b4
	.long	333440916                       ; 0x13dfe794
	.long	1873686678                      ; 0x6fae3096
	.long	1928222740                      ; 0x72ee5814
	;; [unrolled: 1-line block ×9, first 2 shown]
	.long	41030733                        ; 0x272144d
	.long	183716455                       ; 0xaf34a67
	.long	4064095256                      ; 0xf23d2c18
	.long	1430796327                      ; 0x55483827
	;; [unrolled: 1-line block ×5, first 2 shown]
	.long	985592757                       ; 0x3abef3b5
	.long	535070834                       ; 0x1fe48872
	.long	3873372533                      ; 0xe6def975
	.long	175757671                       ; 0xa79d967
	.long	3414803303                      ; 0xcb89c367
	.long	2159028553                      ; 0x80b02949
	;; [unrolled: 1-line block ×4, first 2 shown]
	.long	977680845                       ; 0x3a4639cd
	.long	4224715886                      ; 0xfbd00c6e
	.long	345462057                       ; 0x14975529
	.long	4044727083                      ; 0xf115a32b
	.long	3035532020                      ; 0xb4ee8af4
	;; [unrolled: 1-line block ×3, first 2 shown]
	.long	969203959                       ; 0x39c4e0f7
	.long	984166534                       ; 0x3aa93086
	;; [unrolled: 1-line block ×3, first 2 shown]
	.long	2483976489                      ; 0x940e7929
	.long	2790651795                      ; 0xa655f793
	;; [unrolled: 1-line block ×4, first 2 shown]
	.long	49280479                        ; 0x2eff5df
	.long	917494217                       ; 0x36afd9c9
	.long	769620837                       ; 0x2ddf7b65
	.long	3411018785                      ; 0xcb500421
	.long	3216598401                      ; 0xbfb96581
	;; [unrolled: 1-line block ×9, first 2 shown]
	.long	537787012                       ; 0x200dfa84
	.long	4271656840                      ; 0xfe9c4f88
	.long	220045511                       ; 0xd1da0c7
	.long	2622722506                      ; 0x9c5391ca
	.long	1862365049                      ; 0x6f016f79
	;; [unrolled: 1-line block ×6, first 2 shown]
	.long	524666025                       ; 0x1f45c4a9
	.long	3645751565                      ; 0xd94dc10d
	.long	2415020247                      ; 0x8ff248d7
	.long	252304106                       ; 0xf09daea
	.long	1295777418                      ; 0x4d3bfe8a
	.long	2130267479                      ; 0x7ef94d57
	;; [unrolled: 1-line block ×3, first 2 shown]
	.long	562446539                       ; 0x218640cb
	.long	80437039                        ; 0x4cb5f2f
	.long	249830932                       ; 0xee41e14
	.long	3894066051                      ; 0xe81abb83
	.long	2239638596                      ; 0x857e2c44
	;; [unrolled: 1-line block ×3, first 2 shown]
	.long	117173223                       ; 0x6fbebe7
	.long	3217398876                      ; 0xbfc59c5c
	.long	451287677                       ; 0x1ae61a7d
	.long	3618957054                      ; 0xd7b4e6fe
	.long	4236303539                      ; 0xfc80dcb3
	;; [unrolled: 1-line block ×4, first 2 shown]
	.long	498574915                       ; 0x1db7a643
	.long	2164122779                      ; 0x80fde49b
	.long	582902291                       ; 0x22be6213
	.long	288631030                       ; 0x113428f6
	.long	3101287841                      ; 0xb8d9e5a1
	.long	1853378                         ; 0x1c47c2
	.long	2125490000                      ; 0x7eb06750
	.long	3185055972                      ; 0xbdd818e4
	.long	824635664                       ; 0x3126f110
	.long	1128474163                      ; 0x43432633
	.long	779476209                       ; 0x2e75dcf1
	.long	124284956                       ; 0x768701c
	.long	2488937128                      ; 0x945a2aa8
	.long	1231646648                      ; 0x49696fb8
	.long	338597864                       ; 0x142e97e8
	.long	2873055013                      ; 0xab3f5725
	.long	1171872946                      ; 0x45d95cb2
	;; [unrolled: 1-line block ×3, first 2 shown]
	.long	708957725                       ; 0x2a41d61d
	.long	1557892392                      ; 0x5cdb8d28
	.long	3970896645                      ; 0xecaf1305
	.long	942009076                       ; 0x3825eaf4
	.long	4069926418                      ; 0xf2962612
	.long	2286522565                      ; 0x884990c5
	;; [unrolled: 1-line block ×3, first 2 shown]
	.long	388702536                       ; 0x172b2148
	.long	450999415                       ; 0x1ae1b477
	.long	2995728716                      ; 0xb28f314c
	.long	2523361978                      ; 0x966772ba
	.long	157685189                       ; 0x96615c5
	.long	2648078738                      ; 0x9dd67992
	.long	190663705                       ; 0xb5d4c19
	.long	486809970                       ; 0x1d042172
	;; [unrolled: 1-line block ×4, first 2 shown]
	.long	2941043524                      ; 0xaf4cc344
	.long	3841512738                      ; 0xe4f8d522
	.long	119077561                       ; 0x718fab9
	.long	3762447035                      ; 0xe04262bb
	.long	2668625968                      ; 0x9f100030
	;; [unrolled: 1-line block ×3, first 2 shown]
	.long	9899015                         ; 0x970c07
	.long	2455199230                      ; 0x92575dfe
	.long	3532439568                      ; 0xd28cc010
	;; [unrolled: 1-line block ×7, first 2 shown]
	.long	505633792                       ; 0x1e235c00
	.long	863647562                       ; 0x337a374a
	.long	629585032                       ; 0x2586b488
	.long	958925512                       ; 0x39280ac8
	.long	2618618630                      ; 0x9c14f306
	.long	2067402799                      ; 0x7b3a102f
	;; [unrolled: 1-line block ×14, first 2 shown]
	.long	630164216                       ; 0x258f8af8
	.long	12196305                        ; 0xba19d1
	.long	3007494680                      ; 0xb342ba18
	.long	3292952769                      ; 0xc44678c1
	;; [unrolled: 1-line block ×8, first 2 shown]
	.long	645585788                       ; 0x267adb7c
	.long	865985176                       ; 0x339de298
	.long	13805572                        ; 0xd2a804
	.long	2870727428                      ; 0xab1bd304
	.long	2785498804                      ; 0xa60756b4
	.long	333440916                       ; 0x13dfe794
	.long	3735553268                      ; 0xdea804f4
	.long	1928222740                      ; 0x72ee5814
	;; [unrolled: 1-line block ×5, first 2 shown]
	.long	501640466                       ; 0x1de66d12
	.long	2971423693                      ; 0xb11c53cd
	.long	1428788181                      ; 0x552993d5
	;; [unrolled: 1-line block ×3, first 2 shown]
	.long	41030733                        ; 0x272144d
	.long	97561214                        ; 0x5d0aa7e
	.long	4064095256                      ; 0xf23d2c18
	.long	1430796327                      ; 0x55483827
	;; [unrolled: 1-line block ×5, first 2 shown]
	.long	985592757                       ; 0x3abef3b5
	.long	535070834                       ; 0x1fe48872
	.long	3873372533                      ; 0xe6def975
	.long	175757671                       ; 0xa79d967
	.long	3856277268                      ; 0xe5da1f14
	.long	2159028553                      ; 0x80b02949
	;; [unrolled: 1-line block ×4, first 2 shown]
	.long	977680845                       ; 0x3a4639cd
	.long	3313441827                      ; 0xc57f1c23
	.long	345462057                       ; 0x14975529
	.long	4044727083                      ; 0xf115a32b
	.long	3035532020                      ; 0xb4ee8af4
	;; [unrolled: 1-line block ×4, first 2 shown]
	.long	984166534                       ; 0x3aa93086
	.long	813880136                       ; 0x3082d348
	.long	2483976489                      ; 0x940e7929
	.long	2790651795                      ; 0xa655f793
	;; [unrolled: 1-line block ×4, first 2 shown]
	.long	49280479                        ; 0x2eff5df
	.long	917494217                       ; 0x36afd9c9
	.long	769620837                       ; 0x2ddf7b65
	.long	3969566450                      ; 0xec9ac6f2
	.long	3216598401                      ; 0xbfb96581
	;; [unrolled: 1-line block ×9, first 2 shown]
	.long	537787012                       ; 0x200dfa84
	.long	4166109669                      ; 0xf851c9e5
	.long	220045511                       ; 0xd1da0c7
	.long	2622722506                      ; 0x9c5391ca
	.long	1862365049                      ; 0x6f016f79
	;; [unrolled: 1-line block ×6, first 2 shown]
	.long	524666025                       ; 0x1f45c4a9
	.long	3645751565                      ; 0xd94dc10d
	.long	664164441                       ; 0x27965859
	.long	252304106                       ; 0xf09daea
	.long	1295777418                      ; 0x4d3bfe8a
	.long	2130267479                      ; 0x7ef94d57
	;; [unrolled: 1-line block ×4, first 2 shown]
	.long	80437039                        ; 0x4cb5f2f
	.long	249830932                       ; 0xee41e14
	.long	3894066051                      ; 0xe81abb83
	.long	2239638596                      ; 0x857e2c44
	;; [unrolled: 1-line block ×3, first 2 shown]
	.long	117173223                       ; 0x6fbebe7
	.long	3217398876                      ; 0xbfc59c5c
	.long	451287677                       ; 0x1ae61a7d
	.long	3618957054                      ; 0xd7b4e6fe
	.long	3066415327                      ; 0xb6c5c8df
	.long	1986849360                      ; 0x766cea50
	.long	1724964245                      ; 0x66d0dd95
	.long	498574915                       ; 0x1db7a643
	.long	2164122779                      ; 0x80fde49b
	.long	3541914330                      ; 0xd31d52da
	.long	288631030                       ; 0x113428f6
	.long	3101287841                      ; 0xb8d9e5a1
	.long	1853378                         ; 0x1c47c2
	.long	2125490000                      ; 0x7eb06750
	.long	2207189978                      ; 0x838f0bda
	.long	824635664                       ; 0x3126f110
	.long	1128474163                      ; 0x43432633
	.long	779476209                       ; 0x2e75dcf1
	.long	124284956                       ; 0x768701c
	.long	2117633906                      ; 0x7e388772
	.long	1231646648                      ; 0x49696fb8
	.long	338597864                       ; 0x142e97e8
	.long	2873055013                      ; 0xab3f5725
	.long	1171872946                      ; 0x45d95cb2
	.long	891038594                       ; 0x351c2b82
	.long	708957725                       ; 0x2a41d61d
	.long	1557892392                      ; 0x5cdb8d28
	.long	3970896645                      ; 0xecaf1305
	.long	942009076                       ; 0x3825eaf4
	.long	42952651                        ; 0x28f67cb
	.long	2286522565                      ; 0x884990c5
	.long	2688433076                      ; 0xa03e3bb4
	.long	388702536                       ; 0x172b2148
	.long	450999415                       ; 0x1ae1b477
	.long	2986730356                      ; 0xb205e374
	.long	2523361978                      ; 0x966772ba
	.long	157685189                       ; 0x96615c5
	.long	2648078738                      ; 0x9dd67992
	.long	190663705                       ; 0xb5d4c19
	;; [unrolled: 2-line block ×3, first 2 shown]
	.long	979986388                       ; 0x3a6967d4
	.long	2941043524                      ; 0xaf4cc344
	.long	3841512738                      ; 0xe4f8d522
	;; [unrolled: 1-line block ×6, first 2 shown]
	.long	9899015                         ; 0x970c07
	.long	2599582093                      ; 0x9af2798d
	.long	3532439568                      ; 0xd28cc010
	;; [unrolled: 1-line block ×5, first 2 shown]
	.long	811001941                       ; 0x3056e855
	.long	2242036665                      ; 0x85a2c3b9
	.long	505633792                       ; 0x1e235c00
	.long	863647562                       ; 0x337a374a
	;; [unrolled: 1-line block ×3, first 2 shown]
	.long	2722320710                      ; 0xa2435146
	.long	2618618630                      ; 0x9c14f306
	;; [unrolled: 1-line block ×16, first 2 shown]
	.long	12196305                        ; 0xba19d1
	.long	3007494680                      ; 0xb342ba18
	.long	3292952769                      ; 0xc44678c1
	;; [unrolled: 1-line block ×3, first 2 shown]
	.long	520848705                       ; 0x1f0b8541
	.long	2609377752                      ; 0x9b87f1d8
	.long	4047406592                      ; 0xf13e8600
	;; [unrolled: 1-line block ×5, first 2 shown]
	.long	865985176                       ; 0x339de298
	.long	13805572                        ; 0xd2a804
	.long	2870727428                      ; 0xab1bd304
	.long	2785498804                      ; 0xa60756b4
	;; [unrolled: 1-line block ×8, first 2 shown]
	.long	501640466                       ; 0x1de66d12
	.long	2971423693                      ; 0xb11c53cd
	.long	1428788181                      ; 0x552993d5
	;; [unrolled: 1-line block ×4, first 2 shown]
	.long	97561214                        ; 0x5d0aa7e
	.long	4064095256                      ; 0xf23d2c18
	.long	1430796327                      ; 0x55483827
	;; [unrolled: 1-line block ×5, first 2 shown]
	.long	985592757                       ; 0x3abef3b5
	.long	535070834                       ; 0x1fe48872
	.long	3873372533                      ; 0xe6def975
	.long	770732059                       ; 0x2df0701b
	.long	3856277268                      ; 0xe5da1f14
	.long	2159028553                      ; 0x80b02949
	;; [unrolled: 1-line block ×4, first 2 shown]
	.long	33753949                        ; 0x2030b5d
	.long	3313441827                      ; 0xc57f1c23
	.long	345462057                       ; 0x14975529
	.long	4044727083                      ; 0xf115a32b
	.long	3035532020                      ; 0xb4ee8af4
	;; [unrolled: 1-line block ×6, first 2 shown]
	.long	713457907                       ; 0x2a8680f3
	.long	1577198020                      ; 0x5e0221c4
	.long	1719946821                      ; 0x66844e45
	;; [unrolled: 1-line block ×4, first 2 shown]
	.long	703663722                       ; 0x29f10e6a
	.long	1943886497                      ; 0x73dd5aa1
	.long	2916371044                      ; 0xadd44a64
	;; [unrolled: 1-line block ×3, first 2 shown]
	.long	109438187                       ; 0x685e4eb
	.long	195575943                       ; 0xba84087
	.long	2572727533                      ; 0x9958b4ed
	.long	2421761970                      ; 0x905927b2
	;; [unrolled: 1-line block ×15, first 2 shown]
	.long	848549431                       ; 0x3293d637
	.long	1893685820                      ; 0x70df5a3c
	.long	3510068298                      ; 0xd137644a
	;; [unrolled: 1-line block ×11, first 2 shown]
	.long	796514731                       ; 0x2f79d9ab
	.long	1985886833                      ; 0x765e3a71
	.long	88296218                        ; 0x5434b1a
	.long	3032898657                      ; 0xb4c65c61
	.long	4101301361                      ; 0xf474e471
	;; [unrolled: 1-line block ×3, first 2 shown]
	.long	237792475                       ; 0xe2c6cdb
	.long	1029399834                      ; 0x3d5b651a
	.long	1708840018                      ; 0x65dad452
	;; [unrolled: 1-line block ×18, first 2 shown]
	.long	811404758                       ; 0x305d0dd6
	.long	784379778                       ; 0x2ec0af82
	.long	4283689136                      ; 0xff53e8b0
	.long	405168660                       ; 0x18266214
	.long	3873488622                      ; 0xe6e0beee
	.long	486946690                       ; 0x1d063782
	.long	347427153                       ; 0x14b55151
	.long	2139072474                      ; 0x7f7fa7da
	.long	1143349522                      ; 0x44262112
	;; [unrolled: 1-line block ×10, first 2 shown]
	.long	175937153                       ; 0xa7c9681
	.long	433252852                       ; 0x19d2e9f4
	.long	3232065906                      ; 0xc0a56972
	.long	1111895932                      ; 0x42462f7c
	;; [unrolled: 1-line block ×9, first 2 shown]
	.long	393314401                       ; 0x17718061
	.long	3625733631                      ; 0xd81c4dff
	.long	1073779513                      ; 0x40009339
	;; [unrolled: 1-line block ×12, first 2 shown]
	.long	959734060                       ; 0x3934612c
	.long	842315676                       ; 0x3234b79c
	;; [unrolled: 1-line block ×4, first 2 shown]
	.long	1972100601                      ; 0x758bddf9
	.long	1456042517                      ; 0x56c97215
	;; [unrolled: 1-line block ×4, first 2 shown]
	.long	498998655                       ; 0x1dbe1d7f
	.long	4123310742                      ; 0xf5c4ba96
	.long	1801424182                      ; 0x6b5f8d36
	.long	777808179                       ; 0x2e5c6933
	.long	655425670                       ; 0x27110086
	;; [unrolled: 1-line block ×3, first 2 shown]
	.long	2136252742                      ; 0x7f54a146
	.long	1283378143                      ; 0x4c7ecbdf
	.long	639191135                       ; 0x2619485f
	.long	3132375783                      ; 0xbab442e7
	.long	276649124                       ; 0x107d54a4
	.long	2036776039                      ; 0x7966bc67
	.long	3352396498                      ; 0xc7d182d2
	;; [unrolled: 1-line block ×10, first 2 shown]
	.long	769232312                       ; 0x2dd98db8
	.long	2168822980                      ; 0x81459cc4
	.long	3715831945                      ; 0xdd7b1889
	.long	453874622                       ; 0x1b0d93be
	.long	3351529191                      ; 0xc7c446e7
	.long	3256151193                      ; 0xc214ec99
	;; [unrolled: 3-line block ×3, first 2 shown]
	.long	1518733915                      ; 0x5a860a5b
	.long	3194328753                      ; 0xbe6596b1
	;; [unrolled: 1-line block ×7, first 2 shown]
	.long	445717950                       ; 0x1a911dbe
	.long	3595016420                      ; 0xd64798e4
	.long	3673970127                      ; 0xdafc55cf
	;; [unrolled: 1-line block ×3, first 2 shown]
	.long	494944945                       ; 0x1d8042b1
	.long	152508312                       ; 0x9171798
	.long	4160926899                      ; 0xf802b4b3
	.long	3225674336                      ; 0xc043e260
	.long	827428943                       ; 0x3151904f
	.long	2858523441                      ; 0xaa619b31
	.long	2447266124                      ; 0x91de514c
	.long	1539223637                      ; 0x5bbeb055
	.long	2299756421                      ; 0x89137f85
	.long	776912458                       ; 0x2e4ebe4a
	.long	279091824                       ; 0x10a29a70
	.long	1152725492                      ; 0x44b531f4
	.long	3903457284                      ; 0xe8aa0804
	.long	3987010398                      ; 0xeda4f35e
	.long	3996115574                      ; 0xee2fe276
	.long	839506039                       ; 0x3209d877
	.long	3052513014                      ; 0xb5f1a6f6
	.long	28550291                        ; 0x1b3a493
	.long	2597814974                      ; 0x9ad782be
	.long	2328446377                      ; 0x8ac945a9
	;; [unrolled: 1-line block ×7, first 2 shown]
	.long	997698792                       ; 0x3b77ace8
	.long	931473445                       ; 0x37852825
	.long	3091440507                      ; 0xb843a37b
	.long	820119215                       ; 0x30e206af
	.long	3586778616                      ; 0xd5c9e5f8
	.long	1993126242                      ; 0x76ccb162
	;; [unrolled: 1-line block ×5, first 2 shown]
	.long	65722921                        ; 0x3eada29
	.long	746724958                       ; 0x2c821e5e
	.long	461423533                       ; 0x1b80c3ad
	.long	1582298542                      ; 0x5e4ff5ae
	.long	1564918930                      ; 0x5d46c492
	;; [unrolled: 1-line block ×3, first 2 shown]
	.long	419349792                       ; 0x18fec520
	.long	3914061713                      ; 0xe94bd791
	.long	2279209938                      ; 0x87d9fbd2
	.long	770031171                       ; 0x2de5be43
	.long	2062767935                      ; 0x7af3573f
	.long	3373230309                      ; 0xc90f68e5
	;; [unrolled: 1-line block ×7, first 2 shown]
	.long	501370035                       ; 0x1de24cb3
	.long	2554730117                      ; 0x98461685
	.long	352450195                       ; 0x1501f693
	.long	1002557127                      ; 0x3bc1cec7
	.long	2813224858                      ; 0xa7ae679a
	;; [unrolled: 1-line block ×3, first 2 shown]
	.long	290476252                       ; 0x115050dc
	.long	4216846311                      ; 0xfb57f7e7
	.long	1187381982                      ; 0x46c602de
	;; [unrolled: 1-line block ×5, first 2 shown]
	.long	655242013                       ; 0x270e331d
	.long	1152156402                      ; 0x44ac82f2
	.long	3658526705                      ; 0xda10aff1
	;; [unrolled: 1-line block ×3, first 2 shown]
	.long	693375321                       ; 0x29541159
	.long	2120064836                      ; 0x7e5d9f44
	.long	3726555752                      ; 0xde1eba68
	.long	97387177                        ; 0x5ce02a9
	.long	546586686                       ; 0x2094403e
	.long	1013492636                      ; 0x3c68ab9c
	.long	3874404446                      ; 0xe6eeb85e
	.long	440995849                       ; 0x1a491009
	.long	1929251266                      ; 0x72fe09c2
	.long	95137166                        ; 0x5abad8e
	.long	564969023                       ; 0x21acbe3f
	.long	3559119399                      ; 0xd423da27
	.long	3855477390                      ; 0xe5cdea8e
	;; [unrolled: 1-line block ×14, first 2 shown]
	.long	541021087                       ; 0x203f539f
	.long	1091467742                      ; 0x410e79de
	.long	2743780329                      ; 0xa38ac3e9
	.long	3566538467                      ; 0xd4950ee3
	.long	1277066122                      ; 0x4c1e7b8a
	.long	279582475                       ; 0x10aa170b
	.long	2712119598                      ; 0xa1a7a92e
	.long	3296319359                      ; 0xc479d77f
	;; [unrolled: 1-line block ×6, first 2 shown]
	.long	740953233                       ; 0x2c2a0c91
	.long	3351500634                      ; 0xc7c3d75a
	.long	1791054313                      ; 0x6ac151e9
	;; [unrolled: 1-line block ×3, first 2 shown]
	.long	610062694                       ; 0x245cd166
	.long	3089981426                      ; 0xb82d5ff2
	.long	3469441840                      ; 0xcecb7b30
	;; [unrolled: 1-line block ×5, first 2 shown]
	.long	548784340                       ; 0x20b5c8d4
	.long	549871569                       ; 0x20c65fd1
	;; [unrolled: 1-line block ×3, first 2 shown]
	.long	1593939385                      ; 0x5f0195b9
	.long	645229999                       ; 0x26756daf
	.long	1412095765                      ; 0x542adf15
	.long	2814231763                      ; 0xa7bdc4d3
	;; [unrolled: 1-line block ×3, first 2 shown]
	.long	877462820                       ; 0x344d0524
	.long	2198765077                      ; 0x830e7e15
	.long	1845119421                      ; 0x6dfa49bd
	;; [unrolled: 1-line block ×4, first 2 shown]
	.long	848707034                       ; 0x32963dda
	.long	4144513299                      ; 0xf7084113
	.long	3231318896                      ; 0xc09a0370
	;; [unrolled: 1-line block ×3, first 2 shown]
	.long	693621410                       ; 0x2957d2a2
	.long	2821661683                      ; 0xa82f23f3
	.long	4236142563                      ; 0xfc7e67e3
	.long	680649431                       ; 0x2891e2d7
	.long	3290999942                      ; 0xc428ac86
	.long	200856634                       ; 0xbf8d43a
	.long	617766412                       ; 0x24d25e0c
	.long	3194332974                      ; 0xbe65a72e
	.long	4102392657                      ; 0xf4858b51
	;; [unrolled: 1-line block ×4, first 2 shown]
	.long	793967937                       ; 0x2f52fd41
	.long	2149374605                      ; 0x801cda8d
	.long	3736514467                      ; 0xdeb6afa3
	;; [unrolled: 1-line block ×4, first 2 shown]
	.long	98278184                        ; 0x5db9b28
	.long	1497045279                      ; 0x593b191f
	.long	2945126332                      ; 0xaf8b0fbc
	;; [unrolled: 1-line block ×5, first 2 shown]
	.long	56752862                        ; 0x361fade
	.long	864909862                       ; 0x338d7a26
	.long	625377571                       ; 0x25468123
	.long	2266362085                      ; 0x8715f0e5
	.long	1050287398                      ; 0x3e9a1d26
	.long	925722519                       ; 0x372d6797
	.long	1008109592                      ; 0x3c168818
	.long	2819528345                      ; 0xa80e9699
	.long	3573068613                      ; 0xd4f8b345
	.long	1915083884                      ; 0x7225dc6c
	.long	1536828870                      ; 0x5b9a25c6
	.long	3225674336                      ; 0xc043e260
	.long	827428943                       ; 0x3151904f
	.long	2858523441                      ; 0xaa619b31
	.long	2447266124                      ; 0x91de514c
	;; [unrolled: 1-line block ×4, first 2 shown]
	.long	776912458                       ; 0x2e4ebe4a
	.long	279091824                       ; 0x10a29a70
	.long	1152725492                      ; 0x44b531f4
	.long	1271286102                      ; 0x4bc64956
	.long	3987010398                      ; 0xeda4f35e
	.long	3996115574                      ; 0xee2fe276
	.long	839506039                       ; 0x3209d877
	.long	3052513014                      ; 0xb5f1a6f6
	.long	1036957208                      ; 0x3dceb618
	;; [unrolled: 1-line block ×9, first 2 shown]
	.long	997698792                       ; 0x3b77ace8
	.long	931473445                       ; 0x37852825
	.long	2727078785                      ; 0xa28beb81
	.long	820119215                       ; 0x30e206af
	.long	3586778616                      ; 0xd5c9e5f8
	.long	1993126242                      ; 0x76ccb162
	;; [unrolled: 1-line block ×5, first 2 shown]
	.long	65722921                        ; 0x3eada29
	.long	746724958                       ; 0x2c821e5e
	.long	461423533                       ; 0x1b80c3ad
	.long	2335086228                      ; 0x8b2e9694
	.long	1564918930                      ; 0x5d46c492
	;; [unrolled: 1-line block ×3, first 2 shown]
	.long	419349792                       ; 0x18fec520
	.long	3914061713                      ; 0xe94bd791
	.long	1136716661                      ; 0x43c0eb75
	.long	770031171                       ; 0x2de5be43
	.long	2062767935                      ; 0x7af3573f
	.long	3373230309                      ; 0xc90f68e5
	;; [unrolled: 1-line block ×7, first 2 shown]
	.long	501370035                       ; 0x1de24cb3
	.long	2579000299                      ; 0x99b86beb
	.long	352450195                       ; 0x1501f693
	.long	1002557127                      ; 0x3bc1cec7
	.long	2813224858                      ; 0xa7ae679a
	;; [unrolled: 1-line block ×9, first 2 shown]
	.long	655242013                       ; 0x270e331d
	.long	1152156402                      ; 0x44ac82f2
	.long	3658526705                      ; 0xda10aff1
	;; [unrolled: 1-line block ×6, first 2 shown]
	.long	97387177                        ; 0x5ce02a9
	.long	546586686                       ; 0x2094403e
	.long	584864345                       ; 0x22dc5259
	.long	3874404446                      ; 0xe6eeb85e
	.long	440995849                       ; 0x1a491009
	.long	1929251266                      ; 0x72fe09c2
	.long	95137166                        ; 0x5abad8e
	.long	823950215                       ; 0x311c7b87
	.long	3559119399                      ; 0xd423da27
	.long	3855477390                      ; 0xe5cdea8e
	;; [unrolled: 1-line block ×9, first 2 shown]
	.long	573807317                       ; 0x22339ad5
	.long	1018128176                      ; 0x3caf6730
	.long	2841084399                      ; 0xa95781ef
	;; [unrolled: 1-line block ×16, first 2 shown]
	.long	740953233                       ; 0x2c2a0c91
	.long	3351500634                      ; 0xc7c3d75a
	.long	1791054313                      ; 0x6ac151e9
	;; [unrolled: 1-line block ×3, first 2 shown]
	.long	610062694                       ; 0x245cd166
	.long	3089981426                      ; 0xb82d5ff2
	.long	3469441840                      ; 0xcecb7b30
	;; [unrolled: 1-line block ×5, first 2 shown]
	.long	548784340                       ; 0x20b5c8d4
	.long	549871569                       ; 0x20c65fd1
	;; [unrolled: 1-line block ×3, first 2 shown]
	.long	1825306744                      ; 0x6ccbf878
	.long	645229999                       ; 0x26756daf
	.long	1412095765                      ; 0x542adf15
	.long	2814231763                      ; 0xa7bdc4d3
	;; [unrolled: 1-line block ×8, first 2 shown]
	.long	268197516                       ; 0xffc5e8c
	.long	4144513299                      ; 0xf7084113
	.long	3231318896                      ; 0xc09a0370
	;; [unrolled: 1-line block ×3, first 2 shown]
	.long	693621410                       ; 0x2957d2a2
	.long	2786831464                      ; 0xa61bac68
	.long	4236142563                      ; 0xfc7e67e3
	.long	680649431                       ; 0x2891e2d7
	.long	3290999942                      ; 0xc428ac86
	.long	200856634                       ; 0xbf8d43a
	.long	3822069622                      ; 0xe3d02776
	.long	3194332974                      ; 0xbe65a72e
	;; [unrolled: 1-line block ×5, first 2 shown]
	.long	525501162                       ; 0x1f5282ea
	.long	2149374605                      ; 0x801cda8d
	.long	3736514467                      ; 0xdeb6afa3
	.long	3547689148                      ; 0xd37570bc
	.long	3744888920                      ; 0xdf367858
	.long	3219948462                      ; 0xbfec83ae
	.long	1497045279                      ; 0x593b191f
	.long	2945126332                      ; 0xaf8b0fbc
	.long	4285864315                      ; 0xff75197b
	.long	2791068812                      ; 0xa65c548c
	.long	2678467476                      ; 0x9fa62b94
	.long	56752862                        ; 0x361fade
	.long	864909862                       ; 0x338d7a26
	.long	625377571                       ; 0x25468123
	.long	2266362085                      ; 0x8715f0e5
	.long	2258093843                      ; 0x8697c713
	.long	925722519                       ; 0x372d6797
	.long	1008109592                      ; 0x3c168818
	.long	2819528345                      ; 0xa80e9699
	;; [unrolled: 1-line block ×6, first 2 shown]
	.long	827428943                       ; 0x3151904f
	.long	2858523441                      ; 0xaa619b31
	.long	992128922                       ; 0x3b22af9a
	.long	2186287936                      ; 0x82501b40
	.long	2299756421                      ; 0x89137f85
	.long	776912458                       ; 0x2e4ebe4a
	.long	279091824                       ; 0x10a29a70
	.long	2108721702                      ; 0x7db08a26
	.long	1271286102                      ; 0x4bc64956
	;; [unrolled: 1-line block ×4, first 2 shown]
	.long	839506039                       ; 0x3209d877
	.long	1315622698                      ; 0x4e6acf2a
	.long	1036957208                      ; 0x3dceb618
	;; [unrolled: 1-line block ×9, first 2 shown]
	.long	997698792                       ; 0x3b77ace8
	.long	1317753106                      ; 0x4e8b5112
	.long	2727078785                      ; 0xa28beb81
	.long	820119215                       ; 0x30e206af
	.long	3586778616                      ; 0xd5c9e5f8
	.long	1993126242                      ; 0x76ccb162
	.long	2295599934                      ; 0x88d4133e
	.long	1171102868                      ; 0x45cd9c94
	.long	2120026924                      ; 0x7e5d0b2c
	.long	65722921                        ; 0x3eada29
	.long	746724958                       ; 0x2c821e5e
	.long	3999203443                      ; 0xee5f0073
	.long	2335086228                      ; 0x8b2e9694
	;; [unrolled: 1-line block ×4, first 2 shown]
	.long	419349792                       ; 0x18fec520
	.long	1662083910                      ; 0x63116346
	.long	1136716661                      ; 0x43c0eb75
	.long	770031171                       ; 0x2de5be43
	.long	2062767935                      ; 0x7af3573f
	.long	3373230309                      ; 0xc90f68e5
	;; [unrolled: 1-line block ×9, first 2 shown]
	.long	352450195                       ; 0x1501f693
	.long	1002557127                      ; 0x3bc1cec7
	.long	2813224858                      ; 0xa7ae679a
	;; [unrolled: 1-line block ×9, first 2 shown]
	.long	655242013                       ; 0x270e331d
	.long	1152156402                      ; 0x44ac82f2
	.long	3658526705                      ; 0xda10aff1
	.long	548941006                       ; 0x20b82cce
	.long	3280658482                      ; 0xc38ae032
	.long	2120064836                      ; 0x7e5d9f44
	;; [unrolled: 1-line block ×3, first 2 shown]
	.long	97387177                        ; 0x5ce02a9
	.long	4112878213                      ; 0xf5258a85
	.long	584864345                       ; 0x22dc5259
	.long	3874404446                      ; 0xe6eeb85e
	.long	440995849                       ; 0x1a491009
	;; [unrolled: 2-line block ×3, first 2 shown]
	.long	823950215                       ; 0x311c7b87
	.long	3559119399                      ; 0xd423da27
	.long	3855477390                      ; 0xe5cdea8e
	;; [unrolled: 1-line block ×3, first 2 shown]
	.long	610498128                       ; 0x24637650
	.long	2297040376                      ; 0x88ea0df8
	.long	2054191666                      ; 0x7a707a32
	;; [unrolled: 1-line block ×4, first 2 shown]
	.long	518192832                       ; 0x1ee2fec0
	.long	573807317                       ; 0x22339ad5
	.long	1018128176                      ; 0x3caf6730
	.long	2841084399                      ; 0xa95781ef
	;; [unrolled: 1-line block ×8, first 2 shown]
	.long	386661563                       ; 0x170bfcbb
	.long	1715139924                      ; 0x663af554
	.long	2712119598                      ; 0xa1a7a92e
	;; [unrolled: 1-line block ×7, first 2 shown]
	.long	740953233                       ; 0x2c2a0c91
	.long	3351500634                      ; 0xc7c3d75a
	.long	1296305541                      ; 0x4d440d85
	;; [unrolled: 1-line block ×3, first 2 shown]
	.long	610062694                       ; 0x245cd166
	.long	3089981426                      ; 0xb82d5ff2
	.long	3469441840                      ; 0xcecb7b30
	.long	148510865                       ; 0x8da1891
	.long	1010959310                      ; 0x3c4203ce
	.long	2593994385                      ; 0x9a9d3691
	.long	548784340                       ; 0x20b5c8d4
	.long	549871569                       ; 0x20c65fd1
	;; [unrolled: 1-line block ×3, first 2 shown]
	.long	1825306744                      ; 0x6ccbf878
	.long	645229999                       ; 0x26756daf
	.long	1412095765                      ; 0x542adf15
	.long	2814231763                      ; 0xa7bdc4d3
	;; [unrolled: 1-line block ×8, first 2 shown]
	.long	268197516                       ; 0xffc5e8c
	.long	4144513299                      ; 0xf7084113
	.long	3231318896                      ; 0xc09a0370
	;; [unrolled: 1-line block ×6, first 2 shown]
	.long	680649431                       ; 0x2891e2d7
	.long	3290999942                      ; 0xc428ac86
	.long	4065303704                      ; 0xf24f9c98
	;; [unrolled: 1-line block ×7, first 2 shown]
	.long	525501162                       ; 0x1f5282ea
	.long	2149374605                      ; 0x801cda8d
	.long	3736514467                      ; 0xdeb6afa3
	;; [unrolled: 1-line block ×10, first 2 shown]
	.long	56752862                        ; 0x361fade
	.long	864909862                       ; 0x338d7a26
	.long	625377571                       ; 0x25468123
	.long	2308006661                      ; 0x89916305
	.long	2258093843                      ; 0x8697c713
	.long	925722519                       ; 0x372d6797
	.long	1008109592                      ; 0x3c168818
	.long	2819528345                      ; 0xa80e9699
	;; [unrolled: 1-line block ×6, first 2 shown]
	.long	827428943                       ; 0x3151904f
	.long	1583633720                      ; 0x5e645538
	.long	992128922                       ; 0x3b22af9a
	.long	2186287936                      ; 0x82501b40
	.long	2299756421                      ; 0x89137f85
	.long	776912458                       ; 0x2e4ebe4a
	.long	298217241                       ; 0x11c66f19
	.long	2108721702                      ; 0x7db08a26
	.long	1271286102                      ; 0x4bc64956
	;; [unrolled: 1-line block ×17, first 2 shown]
	.long	820119215                       ; 0x30e206af
	.long	3586778616                      ; 0xd5c9e5f8
	.long	206996196                       ; 0xc5682e4
	.long	2295599934                      ; 0x88d4133e
	.long	1171102868                      ; 0x45cd9c94
	;; [unrolled: 1-line block ×3, first 2 shown]
	.long	65722921                        ; 0x3eada29
	.long	3271158508                      ; 0xc2f9eaec
	.long	3999203443                      ; 0xee5f0073
	.long	2335086228                      ; 0x8b2e9694
	.long	1564918930                      ; 0x5d46c492
	.long	3710935369                      ; 0xdd306149
	.long	3305544914                      ; 0xc5069cd2
	.long	1662083910                      ; 0x63116346
	.long	1136716661                      ; 0x43c0eb75
	.long	770031171                       ; 0x2de5be43
	.long	2062767935                      ; 0x7af3573f
	.long	4244195826                      ; 0xfcf949f2
	.long	3271761171                      ; 0xc3031d13
	.long	4100328450                      ; 0xf4660c02
	.long	3352859025                      ; 0xc7d89191
	.long	1262632952                      ; 0x4b423ff8
	.long	3581040310                      ; 0xd57256b6
	.long	3981040854                      ; 0xed49dcd6
	.long	2579000299                      ; 0x99b86beb
	.long	352450195                       ; 0x1501f693
	.long	1002557127                      ; 0x3bc1cec7
	;; [unrolled: 10-line block ×3, first 2 shown]
	.long	3732146227                      ; 0xde740833
	.long	548941006                       ; 0x20b82cce
	.long	3280658482                      ; 0xc38ae032
	.long	2120064836                      ; 0x7e5d9f44
	;; [unrolled: 1-line block ×5, first 2 shown]
	.long	584864345                       ; 0x22dc5259
	.long	3874404446                      ; 0xe6eeb85e
	.long	440995849                       ; 0x1a491009
	.long	3541162446                      ; 0xd311d9ce
	.long	227230803                       ; 0xd8b4453
	.long	823950215                       ; 0x311c7b87
	.long	3559119399                      ; 0xd423da27
	.long	3855477390                      ; 0xe5cdea8e
	.long	560704260                       ; 0x216bab04
	.long	610498128                       ; 0x24637650
	.long	2297040376                      ; 0x88ea0df8
	.long	2054191666                      ; 0x7a707a32
	;; [unrolled: 1-line block ×4, first 2 shown]
	.long	518192832                       ; 0x1ee2fec0
	.long	573807317                       ; 0x22339ad5
	.long	1018128176                      ; 0x3caf6730
	.long	2841084399                      ; 0xa95781ef
	.long	927011949                       ; 0x3741146d
	.long	2512871059                      ; 0x95c75e93
	.long	2747338726                      ; 0xa3c10fe6
	;; [unrolled: 1-line block ×4, first 2 shown]
	.long	566198434                       ; 0x21bf80a2
	.long	386661563                       ; 0x170bfcbb
	.long	1715139924                      ; 0x663af554
	.long	2712119598                      ; 0xa1a7a92e
	.long	3296319359                      ; 0xc479d77f
	.long	520529825                       ; 0x1f06a7a1
	.long	2508754324                      ; 0x95888d94
	.long	3361368810                      ; 0xc85a6aea
	.long	2284913307                      ; 0x8831029b
	;; [unrolled: 4-line block ×3, first 2 shown]
	.long	610062694                       ; 0x245cd166
	.long	3089981426                      ; 0xb82d5ff2
	.long	120496553                       ; 0x72ea1a9
	.long	148510865                       ; 0x8da1891
	.long	1010959310                      ; 0x3c4203ce
	.long	2593994385                      ; 0x9a9d3691
	.long	548784340                       ; 0x20b5c8d4
	.long	3206664898                      ; 0xbf21d2c2
	.long	124676809                       ; 0x76e6ac9
	;; [unrolled: 2-line block ×4, first 2 shown]
	.long	2540745278                      ; 0x9770b23e
	.long	3792219969                      ; 0xe208af41
	;; [unrolled: 1-line block ×6, first 2 shown]
	.long	268197516                       ; 0xffc5e8c
	.long	4144513299                      ; 0xf7084113
	.long	3231318896                      ; 0xc09a0370
	;; [unrolled: 1-line block ×6, first 2 shown]
	.long	680649431                       ; 0x2891e2d7
	.long	3331403374                      ; 0xc6912e6e
	.long	4065303704                      ; 0xf24f9c98
	.long	3822069622                      ; 0xe3d02776
	.long	3194332974                      ; 0xbe65a72e
	.long	4102392657                      ; 0xf4858b51
	.long	2194924932                      ; 0x82d3e584
	.long	3735376922                      ; 0xdea5541a
	.long	525501162                       ; 0x1f5282ea
	.long	2149374605                      ; 0x801cda8d
	.long	3736514467                      ; 0xdeb6afa3
	;; [unrolled: 1-line block ×10, first 2 shown]
	.long	56752862                        ; 0x361fade
	.long	864909862                       ; 0x338d7a26
	.long	1009125580                      ; 0x3c2608cc
	.long	2308006661                      ; 0x89916305
	;; [unrolled: 1-line block ×3, first 2 shown]
	.long	925722519                       ; 0x372d6797
	.long	1008109592                      ; 0x3c168818
	.long	4166824654                      ; 0xf85cb2ce
	;; [unrolled: 1-line block ×4, first 2 shown]
	.long	841675162                       ; 0x322af19a
	.long	2388734555                      ; 0x8e61325b
	.long	3373081217                      ; 0xc90d2281
	;; [unrolled: 1-line block ×8, first 2 shown]
	.long	806066092                       ; 0x300b97ac
	.long	2168342987                      ; 0x813e49cb
	.long	3778265278                      ; 0xe133c0be
	.long	943582962                       ; 0x383deef2
	.long	3895768303                      ; 0xe834b4ef
	.long	337928214                       ; 0x14246016
	.long	3677576461                      ; 0xdb335d0d
	.long	1884088203                      ; 0x704ce78b
	;; [unrolled: 1-line block ×8, first 2 shown]
	.long	794977307                       ; 0x2f62641b
	.long	2675637463                      ; 0x9f7afcd7
	.long	2655426076                      ; 0x9e46961c
	;; [unrolled: 1-line block ×11, first 2 shown]
	.long	833108024                       ; 0x31a83838
	.long	3562046155                      ; 0xd45082cb
	.long	1113632369                      ; 0x4260ae71
	;; [unrolled: 1-line block ×13, first 2 shown]
	.long	848785806                       ; 0x3297718e
	.long	1834095770                      ; 0x6d52149a
	.long	4017238                         ; 0x3d4c56
	.long	2661097500                      ; 0x9e9d201c
	.long	2935787683                      ; 0xaefc90a3
	;; [unrolled: 1-line block ×8, first 2 shown]
	.long	695479209                       ; 0x29742ba9
	.long	2634119800                      ; 0x9d017a78
	.long	1379839034                      ; 0x523eac3a
	;; [unrolled: 1-line block ×3, first 2 shown]
	.long	921934002                       ; 0x36f398b2
	.long	3586936843                      ; 0xd5cc500b
	.long	3035369677                      ; 0xb4ec10cd
	.long	769283110                       ; 0x2dda5426
	.long	2417935220                      ; 0x901ec374
	.long	3330084607                      ; 0xc67d0eff
	.long	2020519519                      ; 0x786eae5f
	.long	2546176786                      ; 0x97c39312
	.long	1523223165                      ; 0x5aca8a7d
	.long	3654065096                      ; 0xd9cc9bc8
	.long	1835059231                      ; 0x6d60c81f
	.long	2776263618                      ; 0xa57a6bc2
	.long	3837173427                      ; 0xe4b69eb3
	.long	3236141295                      ; 0xc0e398ef
	.long	1184415634                      ; 0x4698bf92
	.long	157448610                       ; 0x96279a2
	.long	2474336972                      ; 0x937b62cc
	.long	3313035876                      ; 0xc578ea64
	.long	309195150                       ; 0x126df18e
	.long	2288837115                      ; 0x886ce1fb
	.long	548743307                       ; 0x20b5288b
	.long	528342914                       ; 0x1f7ddf82
	.long	1527562212                      ; 0x5b0cbfe4
	.long	554918643                       ; 0x211362f3
	.long	2739291918                      ; 0xa346470e
	.long	2630873849                      ; 0x9ccff2f9
	.long	155419923                       ; 0x9438513
	.long	226845272                       ; 0xd856258
	.long	1343735931                      ; 0x5017c87b
	.long	3106346884                      ; 0xb9271784
	;; [unrolled: 1-line block ×7, first 2 shown]
	.long	317920918                       ; 0x12f31696
	.long	745796250                       ; 0x2c73f29a
	.long	3816657414                      ; 0xe37d9206
	.long	4198378080                      ; 0xfa3e2a60
	;; [unrolled: 1-line block ×3, first 2 shown]
	.long	503016924                       ; 0x1dfb6ddc
	.long	2027816790                      ; 0x78de0756
	.long	579332504                       ; 0x2287e998
	.long	3037999504                      ; 0xb5143190
	.long	2857298788                      ; 0xaa4eeb64
	.long	911046668                       ; 0x364d780c
	.long	1170775701                      ; 0x45c89e95
	.long	2369720                         ; 0x2428b8
	.long	3364839261                      ; 0xc88f5f5d
	.long	1462383461                      ; 0x572a3365
	.long	181600856                       ; 0xad30258
	.long	1315241696                      ; 0x4e64fee0
	.long	2861043792                      ; 0xaa881050
	;; [unrolled: 1-line block ×12, first 2 shown]
	.long	410286941                       ; 0x18747b5d
	.long	2497285113                      ; 0x94d98bf9
	.long	1338500439                      ; 0x4fc7e557
	;; [unrolled: 1-line block ×4, first 2 shown]
	.long	545570554                       ; 0x2084befa
	.long	1519868916                      ; 0x5a975bf4
	.long	679216320                       ; 0x287c04c0
	.long	3264840479                      ; 0xc299831f
	.long	4083041163                      ; 0xf35e438b
	.long	261878334                       ; 0xf9bf23e
	.long	2370312122                      ; 0x8d4817ba
	.long	1408058272                      ; 0x53ed43a0
	;; [unrolled: 1-line block ×8, first 2 shown]
	.long	230113502                       ; 0xdb740de
	.long	1766447938                      ; 0x6949db42
	.long	3101286974                      ; 0xb8d9e23e
	.long	917358979                       ; 0x36adc983
	.long	2836128279                      ; 0xa90be217
	.long	2859079881                      ; 0xaa6a18c9
	;; [unrolled: 1-line block ×4, first 2 shown]
	.long	154509481                       ; 0x935a0a9
	.long	2409785274                      ; 0x8fa267ba
	.long	3096379437                      ; 0xb88f002d
	;; [unrolled: 1-line block ×5, first 2 shown]
	.long	230462381                       ; 0xdbc93ad
	.long	4046364119                      ; 0xf12e9dd7
	.long	716597790                       ; 0x2ab66a1e
	.long	2031510641                      ; 0x79166471
	.long	2208319977                      ; 0x83a049e9
	;; [unrolled: 1-line block ×7, first 2 shown]
	.long	768116962                       ; 0x2dc888e2
	.long	1782906996                      ; 0x6a450074
	.long	3022943801                      ; 0xb42e7639
	.long	510040722                       ; 0x1e669a92
	.long	2180373447                      ; 0x81f5dbc7
	.long	1294989632                      ; 0x4d2ff940
	;; [unrolled: 1-line block ×3, first 2 shown]
	.long	953774117                       ; 0x38d97025
	.long	500296619                       ; 0x1dd1ebab
	.long	2269873184                      ; 0x874b8420
	.long	3215368465                      ; 0xbfa6a111
	;; [unrolled: 1-line block ×5, first 2 shown]
	.long	617528376                       ; 0x24cebc38
	.long	2437412983                      ; 0x9147f877
	.long	2921242388                      ; 0xae1e9f14
	;; [unrolled: 1-line block ×7, first 2 shown]
	.long	397599239                       ; 0x17b2e207
	.long	3344183623                      ; 0xc7543147
	.long	1159383441                      ; 0x451ac991
	.long	81554651                        ; 0x4dc6cdb
	.long	4223302962                      ; 0xfbba7d32
	.long	2812031899                      ; 0xa79c339b
	;; [unrolled: 1-line block ×5, first 2 shown]
	.long	670173062                       ; 0x27f20786
	.long	2361031672                      ; 0x8cba7bf8
	.long	1745444335                      ; 0x68095def
	;; [unrolled: 1-line block ×7, first 2 shown]
	.long	92212044                        ; 0x57f0b4c
	.long	1041941495                      ; 0x3e1ac3f7
	.long	4116546365                      ; 0xf55d833d
	;; [unrolled: 1-line block ×4, first 2 shown]
	.long	216246182                       ; 0xce3a7a6
	.long	2271736480                      ; 0x8767f2a0
	.long	1006434362                      ; 0x3bfcf83a
	;; [unrolled: 1-line block ×8, first 2 shown]
	.long	448786402                       ; 0x1abfefe2
	.long	749040342                       ; 0x2ca572d6
	;; [unrolled: 1-line block ×3, first 2 shown]
	.long	2522826782                      ; 0x965f481e
	.long	3681979470                      ; 0xdb768c4e
	;; [unrolled: 1-line block ×3, first 2 shown]
	.long	672615054                       ; 0x28174a8e
	.long	3655479714                      ; 0xd9e231a2
	.long	392178376                       ; 0x17602ac8
	.long	1619518340                      ; 0x6087e384
	.long	1639889010                      ; 0x61beb872
	.long	666186812                       ; 0x27b5343c
	.long	4094569743                      ; 0xf40e2d0f
	.long	2947917117                      ; 0xafb5a53d
	;; [unrolled: 1-line block ×10, first 2 shown]
	.long	58659757                        ; 0x37f13ad
	.long	691952777                       ; 0x293e5c89
	.long	3394715763                      ; 0xca574073
	.long	3333944006                      ; 0xc6b7f2c6
	;; [unrolled: 1-line block ×17, first 2 shown]
	.long	535767974                       ; 0x1fef2ba6
	.long	3105256806                      ; 0xb9167566
	.long	15427398                        ; 0xeb6746
	.long	2472341690                      ; 0x935cf0ba
	.long	685997424                       ; 0x28e37d70
	.long	1374644561                      ; 0x51ef6951
	.long	2446214061                      ; 0x91ce43ad
	;; [unrolled: 1-line block ×13, first 2 shown]
	.long	98163536                        ; 0x5d9db50
	.long	4157153745                      ; 0xf7c921d1
	.long	32476821                        ; 0x1ef8e95
	.long	2354284775                      ; 0x8c5388e7
	.long	752663757                       ; 0x2cdcbccd
	.long	2987293678                      ; 0xb20e7bee
	.long	1119786914                      ; 0x42be97a2
	;; [unrolled: 1-line block ×3, first 2 shown]
	.long	111185876                       ; 0x6a08fd4
	.long	3569592548                      ; 0xd4c3a8e4
	.long	3991775183                      ; 0xededa7cf
	;; [unrolled: 1-line block ×5, first 2 shown]
	.long	426129509                       ; 0x19663865
	.long	3659038742                      ; 0xda188016
	.long	1387393667                      ; 0x52b1f283
	.long	543731583                       ; 0x2068af7f
	.long	781586523                       ; 0x2e96105b
	;; [unrolled: 1-line block ×4, first 2 shown]
	.long	3911092159                      ; 0xe91e87bf
	.long	325250500                       ; 0x1362edc4
	.long	2735441676                      ; 0xa30b870c
	.long	163564958                       ; 0x9bfcd9e
	;; [unrolled: 2-line block ×3, first 2 shown]
	.long	1869530240                      ; 0x6f6ec480
	.long	2233969733                      ; 0x8527ac45
	;; [unrolled: 1-line block ×8, first 2 shown]
	.long	466036013                       ; 0x1bc7252d
	.long	2456954827                      ; 0x927227cb
	.long	2895978734                      ; 0xac9d20ee
	;; [unrolled: 1-line block ×3, first 2 shown]
	.long	230462381                       ; 0xdbc93ad
	.long	2022150409                      ; 0x78879109
	.long	716597790                       ; 0x2ab66a1e
	.long	2031510641                      ; 0x79166471
	.long	2208319977                      ; 0x83a049e9
	;; [unrolled: 1-line block ×7, first 2 shown]
	.long	768116962                       ; 0x2dc888e2
	.long	2303040715                      ; 0x89459ccb
	.long	3022943801                      ; 0xb42e7639
	.long	510040722                       ; 0x1e669a92
	.long	2180373447                      ; 0x81f5dbc7
	.long	1294989632                      ; 0x4d2ff940
	;; [unrolled: 1-line block ×3, first 2 shown]
	.long	953774117                       ; 0x38d97025
	.long	500296619                       ; 0x1dd1ebab
	.long	2269873184                      ; 0x874b8420
	.long	3215368465                      ; 0xbfa6a111
	;; [unrolled: 1-line block ×5, first 2 shown]
	.long	617528376                       ; 0x24cebc38
	.long	2437412983                      ; 0x9147f877
	.long	1730632320                      ; 0x67275a80
	;; [unrolled: 1-line block ×7, first 2 shown]
	.long	397599239                       ; 0x17b2e207
	.long	3344183623                      ; 0xc7543147
	.long	1159383441                      ; 0x451ac991
	.long	81554651                        ; 0x4dc6cdb
	.long	1933731121                      ; 0x73426531
	.long	2812031899                      ; 0xa79c339b
	;; [unrolled: 1-line block ×5, first 2 shown]
	.long	758113139                       ; 0x2d2fe373
	.long	2361031672                      ; 0x8cba7bf8
	.long	1745444335                      ; 0x68095def
	.long	2067906079                      ; 0x7b41be1f
	.long	3019908371                      ; 0xb4002513
	.long	3537991495                      ; 0xd2e17747
	.long	2962440272                      ; 0xb0934050
	.long	3053411095                      ; 0xb5ff5b17
	.long	92212044                        ; 0x57f0b4c
	.long	1041941495                      ; 0x3e1ac3f7
	.long	2653519981                      ; 0x9e29806d
	;; [unrolled: 1-line block ×4, first 2 shown]
	.long	216246182                       ; 0xce3a7a6
	.long	2271736480                      ; 0x8767f2a0
	.long	695350220                       ; 0x297233cc
	.long	4104644208                      ; 0xf4a7e670
	.long	2543874803                      ; 0x97a072f3
	;; [unrolled: 1-line block ×6, first 2 shown]
	.long	448786402                       ; 0x1abfefe2
	.long	749040342                       ; 0x2ca572d6
	;; [unrolled: 1-line block ×3, first 2 shown]
	.long	4081844472                      ; 0xf34c00f8
	.long	3681979470                      ; 0xdb768c4e
	;; [unrolled: 1-line block ×3, first 2 shown]
	.long	672615054                       ; 0x28174a8e
	.long	3655479714                      ; 0xd9e231a2
	.long	197563239                       ; 0xbc69367
	.long	1619518340                      ; 0x6087e384
	.long	1639889010                      ; 0x61beb872
	.long	666186812                       ; 0x27b5343c
	.long	4094569743                      ; 0xf40e2d0f
	.long	2518320719                      ; 0x961a864f
	;; [unrolled: 1-line block ×10, first 2 shown]
	.long	58659757                        ; 0x37f13ad
	.long	3412172826                      ; 0xcb61a01a
	.long	3394715763                      ; 0xca574073
	;; [unrolled: 1-line block ×18, first 2 shown]
	.long	535767974                       ; 0x1fef2ba6
	.long	3105256806                      ; 0xb9167566
	.long	450760279                       ; 0x1ade0e57
	.long	2472341690                      ; 0x935cf0ba
	;; [unrolled: 2-line block ×3, first 2 shown]
	.long	2446214061                      ; 0x91ce43ad
	.long	1873063065                      ; 0x6fa4ac99
	;; [unrolled: 1-line block ×6, first 2 shown]
	.long	813496775                       ; 0x307cf9c7
	.long	1095426642                      ; 0x414ae252
	.long	2940190462                      ; 0xaf3fbefe
	;; [unrolled: 1-line block ×5, first 2 shown]
	.long	98163536                        ; 0x5d9db50
	.long	4157153745                      ; 0xf7c921d1
	.long	32476821                        ; 0x1ef8e95
	.long	2354284775                      ; 0x8c5388e7
	.long	3115605568                      ; 0xb9b45e40
	;; [unrolled: 1-line block ×5, first 2 shown]
	.long	111185876                       ; 0x6a08fd4
	.long	996447434                       ; 0x3b6494ca
	.long	3991775183                      ; 0xededa7cf
	.long	3161418733                      ; 0xbc6f6bed
	;; [unrolled: 1-line block ×7, first 2 shown]
	.long	543731583                       ; 0x2068af7f
	.long	781586523                       ; 0x2e96105b
	.long	2711412312                      ; 0xa19cde58
	.long	832142534                       ; 0x31997cc6
	.long	3911092159                      ; 0xe91e87bf
	;; [unrolled: 2-line block ×3, first 2 shown]
	.long	3563501139                      ; 0xd466b653
	.long	1002098855                      ; 0x3bbad0a7
	.long	337936437                       ; 0x14248035
	.long	1869530240                      ; 0x6f6ec480
	.long	2233969733                      ; 0x8527ac45
	;; [unrolled: 1-line block ×8, first 2 shown]
	.long	466036013                       ; 0x1bc7252d
	.long	2456954827                      ; 0x927227cb
	.long	2895978734                      ; 0xac9d20ee
	;; [unrolled: 1-line block ×5, first 2 shown]
	.long	716597790                       ; 0x2ab66a1e
	.long	2031510641                      ; 0x79166471
	.long	2208319977                      ; 0x83a049e9
	;; [unrolled: 1-line block ×10, first 2 shown]
	.long	510040722                       ; 0x1e669a92
	.long	2180373447                      ; 0x81f5dbc7
	.long	4204167795                      ; 0xfa968273
	.long	3074858415                      ; 0xb7469daf
	.long	953774117                       ; 0x38d97025
	.long	500296619                       ; 0x1dd1ebab
	.long	2269873184                      ; 0x874b8420
	.long	2320314628                      ; 0x8a4d3104
	;; [unrolled: 1-line block ×5, first 2 shown]
	.long	617528376                       ; 0x24cebc38
	.long	712451843                       ; 0x2a772703
	.long	1730632320                      ; 0x67275a80
	.long	2311040363                      ; 0x89bfad6b
	;; [unrolled: 1-line block ×6, first 2 shown]
	.long	397599239                       ; 0x17b2e207
	.long	3344183623                      ; 0xc7543147
	.long	1159383441                      ; 0x451ac991
	.long	758272390                       ; 0x2d325186
	.long	1933731121                      ; 0x73426531
	.long	2812031899                      ; 0xa79c339b
	;; [unrolled: 1-line block ×5, first 2 shown]
	.long	758113139                       ; 0x2d2fe373
	.long	2361031672                      ; 0x8cba7bf8
	.long	1745444335                      ; 0x68095def
	;; [unrolled: 1-line block ×7, first 2 shown]
	.long	92212044                        ; 0x57f0b4c
	.long	817573506                       ; 0x30bb2e82
	.long	2653519981                      ; 0x9e29806d
	.long	2094375399                      ; 0x7cd5a1e7
	;; [unrolled: 1-line block ×3, first 2 shown]
	.long	216246182                       ; 0xce3a7a6
	.long	2456924809                      ; 0x9271b289
	.long	695350220                       ; 0x297233cc
	.long	4104644208                      ; 0xf4a7e670
	.long	2543874803                      ; 0x97a072f3
	;; [unrolled: 1-line block ×6, first 2 shown]
	.long	448786402                       ; 0x1abfefe2
	.long	749040342                       ; 0x2ca572d6
	;; [unrolled: 1-line block ×3, first 2 shown]
	.long	4081844472                      ; 0xf34c00f8
	.long	3681979470                      ; 0xdb768c4e
	;; [unrolled: 1-line block ×3, first 2 shown]
	.long	672615054                       ; 0x28174a8e
	.long	3038758846                      ; 0xb51fc7be
	.long	197563239                       ; 0xbc69367
	.long	1619518340                      ; 0x6087e384
	.long	1639889010                      ; 0x61beb872
	.long	666186812                       ; 0x27b5343c
	.long	4254608071                      ; 0xfd982ac7
	.long	2518320719                      ; 0x961a864f
	;; [unrolled: 1-line block ×10, first 2 shown]
	.long	403923766                       ; 0x18136336
	.long	3412172826                      ; 0xcb61a01a
	.long	3394715763                      ; 0xca574073
	;; [unrolled: 1-line block ×14, first 2 shown]
	.long	966714666                       ; 0x399ee52a
	.long	3546175061                      ; 0xd35e5655
	.long	2376551740                      ; 0x8da74d3c
	.long	1137628506                      ; 0x43ced55a
	.long	535767974                       ; 0x1fef2ba6
	.long	1561255376                      ; 0x5d0eddd0
	.long	450760279                       ; 0x1ade0e57
	.long	2472341690                      ; 0x935cf0ba
	;; [unrolled: 2-line block ×3, first 2 shown]
	.long	3122124160                      ; 0xba17d580
	.long	1873063065                      ; 0x6fa4ac99
	;; [unrolled: 1-line block ×6, first 2 shown]
	.long	813496775                       ; 0x307cf9c7
	.long	1095426642                      ; 0x414ae252
	.long	2940190462                      ; 0xaf3fbefe
	.long	4276038488                      ; 0xfedf2b58
	.long	2802023399                      ; 0xa7037be7
	.long	3857233976                      ; 0xe5e8b838
	.long	98163536                        ; 0x5d9db50
	.long	4157153745                      ; 0xf7c921d1
	.long	32476821                        ; 0x1ef8e95
	.long	1640659450                      ; 0x61ca79fa
	.long	3115605568                      ; 0xb9b45e40
	;; [unrolled: 1-line block ×6, first 2 shown]
	.long	996447434                       ; 0x3b6494ca
	.long	3991775183                      ; 0xededa7cf
	.long	3161418733                      ; 0xbc6f6bed
	;; [unrolled: 1-line block ×7, first 2 shown]
	.long	543731583                       ; 0x2068af7f
	.long	1694361696                      ; 0x64fde860
	.long	2711412312                      ; 0xa19cde58
	.long	832142534                       ; 0x31997cc6
	.long	3911092159                      ; 0xe91e87bf
	.long	325250500                       ; 0x1362edc4
	.long	166035542                       ; 0x9e58056
	.long	3563501139                      ; 0xd466b653
	.long	1002098855                      ; 0x3bbad0a7
	.long	337936437                       ; 0x14248035
	.long	1869530240                      ; 0x6f6ec480
	.long	1306446339                      ; 0x4ddeca03
	;; [unrolled: 1-line block ×6, first 2 shown]
	.long	61899937                        ; 0x3b084a1
	.long	3832870112                      ; 0xe474f4e0
	.long	466036013                       ; 0x1bc7252d
	.long	2456954827                      ; 0x927227cb
	.long	2895978734                      ; 0xac9d20ee
	.long	767569205                       ; 0x2dc02d35
	.long	2340808859                      ; 0x8b85e89b
	;; [unrolled: 3-line block ×3, first 2 shown]
	.long	1690074863                      ; 0x64bc7eef
	.long	1823993818                      ; 0x6cb7efda
	;; [unrolled: 1-line block ×5, first 2 shown]
	.long	546011580                       ; 0x208b79bc
	.long	2489609764                      ; 0x94646e24
	.long	2303040715                      ; 0x89459ccb
	;; [unrolled: 1-line block ×3, first 2 shown]
	.long	510040722                       ; 0x1e669a92
	.long	825252468                       ; 0x31305a74
	.long	4204167795                      ; 0xfa968273
	.long	3074858415                      ; 0xb7469daf
	.long	953774117                       ; 0x38d97025
	.long	500296619                       ; 0x1dd1ebab
	.long	1952242515                      ; 0x745cdb53
	.long	2320314628                      ; 0x8a4d3104
	;; [unrolled: 1-line block ×6, first 2 shown]
	.long	712451843                       ; 0x2a772703
	.long	1730632320                      ; 0x67275a80
	.long	2311040363                      ; 0x89bfad6b
	;; [unrolled: 1-line block ×6, first 2 shown]
	.long	397599239                       ; 0x17b2e207
	.long	3344183623                      ; 0xc7543147
	.long	1759399025                      ; 0x68de4c71
	.long	758272390                       ; 0x2d325186
	.long	1933731121                      ; 0x73426531
	.long	2812031899                      ; 0xa79c339b
	;; [unrolled: 1-line block ×5, first 2 shown]
	.long	758113139                       ; 0x2d2fe373
	.long	2361031672                      ; 0x8cba7bf8
	.long	1745444335                      ; 0x68095def
	;; [unrolled: 1-line block ×8, first 2 shown]
	.long	817573506                       ; 0x30bb2e82
	.long	2653519981                      ; 0x9e29806d
	.long	2094375399                      ; 0x7cd5a1e7
	;; [unrolled: 1-line block ×5, first 2 shown]
	.long	695350220                       ; 0x297233cc
	.long	4104644208                      ; 0xf4a7e670
	.long	2543874803                      ; 0x97a072f3
	;; [unrolled: 1-line block ×6, first 2 shown]
	.long	448786402                       ; 0x1abfefe2
	.long	801157439                       ; 0x2fc0b13f
	;; [unrolled: 1-line block ×3, first 2 shown]
	.long	4081844472                      ; 0xf34c00f8
	.long	3681979470                      ; 0xdb768c4e
	;; [unrolled: 1-line block ×3, first 2 shown]
	.long	975875511                       ; 0x3a2aadb7
	.long	3038758846                      ; 0xb51fc7be
	.long	197563239                       ; 0xbc69367
	.long	1619518340                      ; 0x6087e384
	.long	1639889010                      ; 0x61beb872
	;; [unrolled: 1-line block ×7, first 2 shown]
	.long	631178204                       ; 0x259f03dc
	.long	3100620860                      ; 0xb8cfb83c
	.long	3320483696                      ; 0xc5ea8f70
	;; [unrolled: 1-line block ×5, first 2 shown]
	.long	403923766                       ; 0x18136336
	.long	3412172826                      ; 0xcb61a01a
	.long	3394715763                      ; 0xca574073
	;; [unrolled: 1-line block ×3, first 2 shown]
	.long	37220448                        ; 0x237f060
	.long	1859724785                      ; 0x6ed925f1
	.long	1693717788                      ; 0x64f4151c
	.long	2071056894                      ; 0x7b71d1fe
	.long	1263790655                      ; 0x4b53ea3f
	.long	228419012                       ; 0xd9d65c4
	.long	2908736862                      ; 0xad5fcd5e
	.long	2564478937                      ; 0x98dad7d9
	.long	3031631424                      ; 0xb4b30640
	.long	3912597408                      ; 0xe9357fa0
	.long	3862306448                      ; 0xe6361e90
	.long	966714666                       ; 0x399ee52a
	.long	3546175061                      ; 0xd35e5655
	;; [unrolled: 6-line block ×3, first 2 shown]
	.long	685997424                       ; 0x28e37d70
	.long	2456661198                      ; 0x926dacce
	.long	3122124160                      ; 0xba17d580
	;; [unrolled: 1-line block ×7, first 2 shown]
	.long	813496775                       ; 0x307cf9c7
	.long	1095426642                      ; 0x414ae252
	.long	2940190462                      ; 0xaf3fbefe
	;; [unrolled: 1-line block ×5, first 2 shown]
	.long	98163536                        ; 0x5d9db50
	.long	4157153745                      ; 0xf7c921d1
	.long	1578965959                      ; 0x5e1d1bc7
	;; [unrolled: 1-line block ×8, first 2 shown]
	.long	996447434                       ; 0x3b6494ca
	.long	3991775183                      ; 0xededa7cf
	.long	3161418733                      ; 0xbc6f6bed
	.long	4123935663                      ; 0xf5ce43af
	.long	3398421232                      ; 0xca8fcaf0
	.long	1089784804                      ; 0x40f4cbe4
	.long	3659038742                      ; 0xda188016
	.long	1387393667                      ; 0x52b1f283
	.long	770706529                       ; 0x2df00c61
	.long	1694361696                      ; 0x64fde860
	.long	2711412312                      ; 0xa19cde58
	.long	832142534                       ; 0x31997cc6
	.long	3911092159                      ; 0xe91e87bf
	.long	335435644                       ; 0x13fe577c
	.long	166035542                       ; 0x9e58056
	.long	3563501139                      ; 0xd466b653
	.long	1002098855                      ; 0x3bbad0a7
	.long	337936437                       ; 0x14248035
	.long	2961857543                      ; 0xb08a5c07
	.long	1306446339                      ; 0x4ddeca03
	;; [unrolled: 1-line block ×11, first 2 shown]
	.long	779574284                       ; 0x2e775c0c
	.long	2369501052                      ; 0x8d3bb77c
	.long	2316224856                      ; 0x8a0ec958
	;; [unrolled: 1-line block ×9, first 2 shown]
	.long	679206534                       ; 0x287bde86
	.long	4014394509                      ; 0xef46cc8d
	.long	3624968312                      ; 0xd810a078
	;; [unrolled: 1-line block ×3, first 2 shown]
	.long	725015758                       ; 0x2b36dcce
	.long	707677352                       ; 0x2a2e4ca8
	.long	3764409715                      ; 0xe0605573
	.long	1938306480                      ; 0x738835b0
	.long	2171474419                      ; 0x816e11f3
	.long	3379664161                      ; 0xc9719521
	.long	684262379                       ; 0x28c903eb
	.long	2142433069                      ; 0x7fb2ef2d
	.long	43407198                        ; 0x296575e
	.long	1398850259                      ; 0x5360c2d3
	.long	2059135843                      ; 0x7abbeb63
	.long	240266749                       ; 0xe522dfd
	.long	3788738212                      ; 0xe1d38ea4
	.long	118513026                       ; 0x7105d82
	.long	820245055                       ; 0x30e3f23f
	.long	1152812311                      ; 0x44b68517
	.long	1398373423                      ; 0x53597c2f
	;; [unrolled: 1-line block ×3, first 2 shown]
	.long	872620936                       ; 0x34032388
	.long	2084649448                      ; 0x7c4139e8
	.long	807979538                       ; 0x3028ca12
	.long	819501992                       ; 0x30d89ba8
	;; [unrolled: 1-line block ×3, first 2 shown]
	.long	3393148006                      ; 0xca3f5466
	.long	1765623964                      ; 0x693d489c
	;; [unrolled: 1-line block ×13, first 2 shown]
	.long	761776508                       ; 0x2d67c97c
	.long	873010906                       ; 0x340916da
	.long	1609627751                      ; 0x5ff0f867
	.long	4260021041                      ; 0xfdeac331
	;; [unrolled: 1-line block ×3, first 2 shown]
	.long	960771906                       ; 0x39443742
	.long	2647903291                      ; 0x9dd3cc3b
	.long	77475681                        ; 0x49e2f61
	.long	1282566533                      ; 0x4c726985
	.long	4022186916                      ; 0xefbdb3a4
	;; [unrolled: 1-line block ×6, first 2 shown]
	.long	74236514                        ; 0x46cc262
	.long	2806532232                      ; 0xa7484888
	.long	3981048887                      ; 0xed49fc37
	;; [unrolled: 1-line block ×5, first 2 shown]
	.long	701886756                       ; 0x29d5f124
	.long	4124077776                      ; 0xf5d06ed0
	.long	3738147505                      ; 0xdecf9ab1
	.long	4066663138                      ; 0xf2645ae2
	.long	3816449863                      ; 0xe37a6747
	.long	921061872                       ; 0x36e649f0
	.long	2956972182                      ; 0xb03fd096
	.long	3159072916                      ; 0xbc4ba094
	;; [unrolled: 1-line block ×5, first 2 shown]
	.long	671098116                       ; 0x28002504
	.long	1282750020                      ; 0x4c753644
	.long	1008618197                      ; 0x3c1e4ad5
	;; [unrolled: 1-line block ×5, first 2 shown]
	.long	131027176                       ; 0x7cf50e8
	.long	666394000                       ; 0x27b85d90
	.long	2062217824                      ; 0x7aeaf260
	.long	1763334218                      ; 0x691a584a
	.long	551118598                       ; 0x20d96706
	.long	1277961175                      ; 0x4c2c23d7
	.long	3523893635                      ; 0xd20a5983
	;; [unrolled: 1-line block ×8, first 2 shown]
	.long	389417851                       ; 0x17360b7b
	.long	2711591984                      ; 0xa19f9c30
	.long	427723436                       ; 0x197e8aac
	.long	1039703630                      ; 0x3df89e4e
	.long	639602991                       ; 0x261f912f
	.long	444779318                       ; 0x1a82cb36
	.long	2722002973                      ; 0xa23e781d
	.long	3927985419                      ; 0xea204d0b
	;; [unrolled: 1-line block ×3, first 2 shown]
	.long	298277450                       ; 0x11c75a4a
	.long	656022205                       ; 0x271a1abd
	;; [unrolled: 1-line block ×3, first 2 shown]
	.long	3847728042                      ; 0xe557abaa
	.long	3339100423                      ; 0xc706a107
	.long	407022043                       ; 0x1842a9db
	.long	1282443442                      ; 0x4c7088b2
	.long	3173884578                      ; 0xbd2da2a2
	;; [unrolled: 1-line block ×8, first 2 shown]
	.long	705887737                       ; 0x2a12fdf9
	.long	2129202688                      ; 0x7ee90e00
	.long	3853676283                      ; 0xe5b26efb
	.long	1388329793                      ; 0x52c03b41
	.long	875153687                       ; 0x3429c917
	.long	2367465660                      ; 0x8d1ca8bc
	.long	2763058233                      ; 0xa4b0ec39
	;; [unrolled: 1-line block ×4, first 2 shown]
	.long	491306883                       ; 0x1d48bf83
	.long	277753357                       ; 0x108e2e0d
	.long	3868415380                      ; 0xe6935594
	.long	324867643                       ; 0x135d163b
	.long	3654474955                      ; 0xd9d2dccb
	.long	2569410351                      ; 0x9926172f
	;; [unrolled: 1-line block ×5, first 2 shown]
	.long	662085935                       ; 0x2776a12f
	.long	2263514999                      ; 0x86ea7f77
	.long	3077768113                      ; 0xb77303b1
	;; [unrolled: 1-line block ×5, first 2 shown]
	.long	188422725                       ; 0xb3b1a45
	.long	813812450                       ; 0x3081cae2
	.long	1502276531                      ; 0x598aebb3
	.long	3909138356                      ; 0xe900b7b4
	;; [unrolled: 1-line block ×4, first 2 shown]
	.long	573108836                       ; 0x2228f264
	.long	1240264181                      ; 0x49ecedf5
	.long	1624064648                      ; 0x60cd4288
	;; [unrolled: 1-line block ×10, first 2 shown]
	.long	996186898                       ; 0x3b609b12
	.long	3893981177                      ; 0xe8196ff9
	.long	1268272590                      ; 0x4b984dce
	.long	3226095713                      ; 0xc04a5061
	.long	153038465                       ; 0x91f2e81
	.long	2184871198                      ; 0x823a7d1e
	.long	3224094011                      ; 0xc02bc53b
	;; [unrolled: 1-line block ×8, first 2 shown]
	.long	367907454                       ; 0x15edd27e
	.long	574009898                       ; 0x2236b22a
	.long	1948901330                      ; 0x7429dfd2
	.long	60430044                        ; 0x39a16dc
	.long	1569835584                      ; 0x5d91ca40
	.long	3160561697                      ; 0xbc625821
	.long	321792583                       ; 0x132e2a47
	.long	3179087993                      ; 0xbd7d0879
	.long	1936928378                      ; 0x73732e7a
	.long	412346905                       ; 0x1893ea19
	.long	4020812489                      ; 0xefa8bac9
	.long	2603392174                      ; 0x9b2c9cae
	;; [unrolled: 1-line block ×12, first 2 shown]
	.long	8035741                         ; 0x7a9d9d
	.long	4038904206                      ; 0xf0bcc98e
	.long	2408545792                      ; 0x8f8f7e00
	.long	969543501                       ; 0x39ca0f4d
	.long	954847087                       ; 0x38e9cf6f
	;; [unrolled: 1-line block ×3, first 2 shown]
	.long	3096241999                      ; 0xb88ce74f
	.long	2566194741                      ; 0x98f50635
	.long	84678421                        ; 0x50c1715
	.long	3882676079                      ; 0xe76cef6f
	.long	2483934330                      ; 0x940dd47a
	;; [unrolled: 1-line block ×4, first 2 shown]
	.long	620385599                       ; 0x24fa553f
	.long	898325340                       ; 0x358b5b5c
	.long	2145883445                      ; 0x7fe79535
	.long	3653728520                      ; 0xd9c77908
	;; [unrolled: 1-line block ×4, first 2 shown]
	.long	904854507                       ; 0x35eefbeb
	.long	3216304963                      ; 0xbfb4eb43
	.long	2373268568                      ; 0x8d753458
	;; [unrolled: 1-line block ×11, first 2 shown]
	.long	925440190                       ; 0x372918be
	.long	1508686692                      ; 0x59ecbb64
	.long	1104647879                      ; 0x41d796c7
	;; [unrolled: 1-line block ×4, first 2 shown]
	.long	127787091                       ; 0x79de053
	.long	1528394637                      ; 0x5b19738d
	.long	1739640835                      ; 0x67b0d003
	;; [unrolled: 1-line block ×8, first 2 shown]
	.long	811612039                       ; 0x30603787
	.long	1750779366                      ; 0x685ac5e6
	.long	1157474938                      ; 0x44fdaa7a
	.long	514004414                       ; 0x1ea315be
	.long	2264909096                      ; 0x86ffc528
	.long	3730411668                      ; 0xde599094
	.long	3308882513                      ; 0xc5398a51
	.long	1834571716                      ; 0x6d5957c4
	.long	378288317                       ; 0x168c38bd
	.long	3800023701                      ; 0xe27fc295
	.long	763396788                       ; 0x2d8082b4
	.long	1597708317                      ; 0x5f3b181d
	.long	983953861                       ; 0x3aa5f1c5
	.long	94566098                        ; 0x5a2f6d2
	.long	1548157668                      ; 0x5c4702e4
	.long	3755427117                      ; 0xdfd7452d
	.long	1646496505                      ; 0x62238af9
	.long	3748241449                      ; 0xdf69a029
	.long	3439805936                      ; 0xcd0745f0
	.long	2321644449                      ; 0x8a617ba1
	.long	3805706235                      ; 0xe2d677fb
	.long	4220083901                      ; 0xfb895ebd
	.long	1069923823                      ; 0x3fc5bdef
	.long	2984004391                      ; 0xb1dc4b27
	.long	3824885361                      ; 0xe3fb1e71
	.long	1967477766                      ; 0x75455406
	.long	218978249                       ; 0xd0d57c9
	.long	348955028                       ; 0x14cca194
	.long	3188651823                      ; 0xbe0ef72f
	.long	1008338679                      ; 0x3c1a06f7
	;; [unrolled: 1-line block ×8, first 2 shown]
	.long	319754369                       ; 0x130f1081
	.long	2763991927                      ; 0xa4bf2b77
	.long	1983149629                      ; 0x7634763d
	;; [unrolled: 1-line block ×6, first 2 shown]
	.long	669775440                       ; 0x27ebf650
	.long	886127995                       ; 0x34d13d7b
	.long	1636688014                      ; 0x618de08e
	.long	1251222487                      ; 0x4a9423d7
	;; [unrolled: 1-line block ×10, first 2 shown]
	.long	750726325                       ; 0x2cbf2cb5
	.long	1014534145                      ; 0x3c789001
	.long	2091792357                      ; 0x7cae37e5
	;; [unrolled: 1-line block ×7, first 2 shown]
	.long	61137652                        ; 0x3a4e2f4
	.long	1162051299                      ; 0x45437ee3
	.long	399657268                       ; 0x17d24934
	.long	1682018695                      ; 0x64419187
	.long	2640231287                      ; 0x9d5ebb77
	;; [unrolled: 1-line block ×15, first 2 shown]
	.long	996186898                       ; 0x3b609b12
	.long	3893981177                      ; 0xe8196ff9
	.long	1268272590                      ; 0x4b984dce
	;; [unrolled: 1-line block ×3, first 2 shown]
	.long	952803645                       ; 0x38caa13d
	.long	2184871198                      ; 0x823a7d1e
	.long	3224094011                      ; 0xc02bc53b
	;; [unrolled: 1-line block ×4, first 2 shown]
	.long	738368399                       ; 0x2c029b8f
	.long	4194384320                      ; 0xfa0139c0
	.long	2837011297                      ; 0xa9195b61
	;; [unrolled: 1-line block ×3, first 2 shown]
	.long	367907454                       ; 0x15edd27e
	.long	3772812520                      ; 0xe0e08ce8
	.long	1948901330                      ; 0x7429dfd2
	.long	60430044                        ; 0x39a16dc
	.long	1569835584                      ; 0x5d91ca40
	.long	3160561697                      ; 0xbc625821
	;; [unrolled: 1-line block ×5, first 2 shown]
	.long	412346905                       ; 0x1893ea19
	.long	4020812489                      ; 0xefa8bac9
	.long	3754224996                      ; 0xdfc4ed64
	;; [unrolled: 1-line block ×12, first 2 shown]
	.long	8035741                         ; 0x7a9d9d
	.long	4038904206                      ; 0xf0bcc98e
	.long	2408545792                      ; 0x8f8f7e00
	.long	969543501                       ; 0x39ca0f4d
	.long	3189323143                      ; 0xbe193587
	.long	956553276                       ; 0x3903d83c
	.long	3096241999                      ; 0xb88ce74f
	.long	2566194741                      ; 0x98f50635
	.long	84678421                        ; 0x50c1715
	.long	996778900                       ; 0x3b69a394
	.long	2483934330                      ; 0x940dd47a
	.long	3673546814                      ; 0xdaf5e03e
	;; [unrolled: 1-line block ×3, first 2 shown]
	.long	620385599                       ; 0x24fa553f
	.long	3129088144                      ; 0xba821890
	.long	2145883445                      ; 0x7fe79535
	;; [unrolled: 1-line block ×15, first 2 shown]
	.long	59908073                        ; 0x3921fe9
	.long	4051221847                      ; 0xf178bd57
	.long	925440190                       ; 0x372918be
	.long	1508686692                      ; 0x59ecbb64
	.long	1104647879                      ; 0x41d796c7
	;; [unrolled: 1-line block ×4, first 2 shown]
	.long	127787091                       ; 0x79de053
	.long	1528394637                      ; 0x5b19738d
	.long	1739640835                      ; 0x67b0d003
	.long	62963469                        ; 0x3c0bf0d
	.long	3792639955                      ; 0xe20f17d3
	.long	1450796299                      ; 0x5679650b
	;; [unrolled: 1-line block ×4, first 2 shown]
	.long	667987389                       ; 0x27d0adbd
	.long	811612039                       ; 0x30603787
	.long	1750779366                      ; 0x685ac5e6
	.long	1157474938                      ; 0x44fdaa7a
	.long	514004414                       ; 0x1ea315be
	.long	2737193098                      ; 0xa326408a
	.long	3730411668                      ; 0xde599094
	;; [unrolled: 1-line block ×4, first 2 shown]
	.long	378288317                       ; 0x168c38bd
	.long	3452657469                      ; 0xcdcb5f3d
	.long	763396788                       ; 0x2d8082b4
	.long	1597708317                      ; 0x5f3b181d
	.long	983953861                       ; 0x3aa5f1c5
	.long	94566098                        ; 0x5a2f6d2
	.long	2752347916                      ; 0xa40d7f0c
	.long	3755427117                      ; 0xdfd7452d
	;; [unrolled: 1-line block ×12, first 2 shown]
	.long	218978249                       ; 0xd0d57c9
	.long	348955028                       ; 0x14cca194
	.long	3188651823                      ; 0xbe0ef72f
	.long	4168456281                      ; 0xf8759859
	;; [unrolled: 1-line block ×6, first 2 shown]
	.long	814903833                       ; 0x30927219
	.long	1759522678                      ; 0x68e02f76
	.long	319754369                       ; 0x130f1081
	.long	2763991927                      ; 0xa4bf2b77
	.long	1983149629                      ; 0x7634763d
	;; [unrolled: 1-line block ×6, first 2 shown]
	.long	669775440                       ; 0x27ebf650
	.long	1004789460                      ; 0x3be3ded4
	.long	1636688014                      ; 0x618de08e
	;; [unrolled: 1-line block ×10, first 2 shown]
	.long	153421222                       ; 0x92505a6
	.long	750726325                       ; 0x2cbf2cb5
	.long	1014534145                      ; 0x3c789001
	.long	2091792357                      ; 0x7cae37e5
	;; [unrolled: 1-line block ×7, first 2 shown]
	.long	61137652                        ; 0x3a4e2f4
	.long	1455028838                      ; 0x56b9fa66
	.long	399657268                       ; 0x17d24934
	.long	1682018695                      ; 0x64419187
	.long	2640231287                      ; 0x9d5ebb77
	.long	1733438115                      ; 0x67522aa3
	.long	1853142849                      ; 0x6e74b741
	.long	2077891037                      ; 0x7bda19dd
	.long	1240264181                      ; 0x49ecedf5
	.long	1624064648                      ; 0x60cd4288
	.long	3039823158                      ; 0xb5300536
	.long	2235369076                      ; 0x853d0674
	.long	4188888201                      ; 0xf9ad5c89
	.long	2762062141                      ; 0xa4a1b93d
	.long	3273470484                      ; 0xc31d3214
	.long	1889745445                      ; 0x70a33a25
	.long	3627876603                      ; 0xd83d00fb
	.long	2621448256                      ; 0x9c402040
	.long	996186898                       ; 0x3b609b12
	.long	3893981177                      ; 0xe8196ff9
	.long	1268272590                      ; 0x4b984dce
	;; [unrolled: 1-line block ×3, first 2 shown]
	.long	952803645                       ; 0x38caa13d
	.long	2184871198                      ; 0x823a7d1e
	.long	3224094011                      ; 0xc02bc53b
	;; [unrolled: 1-line block ×3, first 2 shown]
	.long	861379413                       ; 0x33579b55
	.long	738368399                       ; 0x2c029b8f
	.long	4194384320                      ; 0xfa0139c0
	.long	2837011297                      ; 0xa9195b61
	.long	3638232350                      ; 0xd8db051e
	.long	3753321702                      ; 0xdfb724e6
	.long	3772812520                      ; 0xe0e08ce8
	.long	1948901330                      ; 0x7429dfd2
	.long	60430044                        ; 0x39a16dc
	.long	1569835584                      ; 0x5d91ca40
	.long	581506474                       ; 0x22a915aa
	.long	1655622513                      ; 0x62aecb71
	.long	3179087993                      ; 0xbd7d0879
	;; [unrolled: 1-line block ×3, first 2 shown]
	.long	412346905                       ; 0x1893ea19
	.long	2710043900                      ; 0xa187fcfc
	.long	3754224996                      ; 0xdfc4ed64
	;; [unrolled: 1-line block ×12, first 2 shown]
	.long	8035741                         ; 0x7a9d9d
	.long	4038904206                      ; 0xf0bcc98e
	.long	2408545792                      ; 0x8f8f7e00
	;; [unrolled: 1-line block ×4, first 2 shown]
	.long	956553276                       ; 0x3903d83c
	.long	3096241999                      ; 0xb88ce74f
	.long	2566194741                      ; 0x98f50635
	;; [unrolled: 1-line block ×3, first 2 shown]
	.long	996778900                       ; 0x3b69a394
	.long	2483934330                      ; 0x940dd47a
	.long	3673546814                      ; 0xdaf5e03e
	;; [unrolled: 1-line block ×8, first 2 shown]
	.long	21840044                        ; 0x14d40ac
	.long	4230756652                      ; 0xfc2c392c
	.long	3216304963                      ; 0xbfb4eb43
	;; [unrolled: 1-line block ×10, first 2 shown]
	.long	59908073                        ; 0x3921fe9
	.long	4051221847                      ; 0xf178bd57
	.long	925440190                       ; 0x372918be
	.long	1508686692                      ; 0x59ecbb64
	.long	2938291976                      ; 0xaf22c708
	;; [unrolled: 1-line block ×4, first 2 shown]
	.long	127787091                       ; 0x79de053
	.long	1528394637                      ; 0x5b19738d
	.long	1914923136                      ; 0x72236880
	.long	62963469                        ; 0x3c0bf0d
	.long	3792639955                      ; 0xe20f17d3
	.long	1450796299                      ; 0x5679650b
	;; [unrolled: 1-line block ×3, first 2 shown]
	.long	257322213                       ; 0xf566ce5
	.long	667987389                       ; 0x27d0adbd
	;; [unrolled: 1-line block ×3, first 2 shown]
	.long	1750779366                      ; 0x685ac5e6
	.long	1157474938                      ; 0x44fdaa7a
	;; [unrolled: 1-line block ×9, first 2 shown]
	.long	763396788                       ; 0x2d8082b4
	.long	1597708317                      ; 0x5f3b181d
	.long	983953861                       ; 0x3aa5f1c5
	.long	1337754195                      ; 0x4fbc8253
	.long	2752347916                      ; 0xa40d7f0c
	;; [unrolled: 1-line block ×13, first 2 shown]
	.long	218978249                       ; 0xd0d57c9
	.long	348955028                       ; 0x14cca194
	.long	3425797638                      ; 0xcc318606
	.long	4168456281                      ; 0xf8759859
	;; [unrolled: 1-line block ×6, first 2 shown]
	.long	814903833                       ; 0x30927219
	.long	1759522678                      ; 0x68e02f76
	.long	319754369                       ; 0x130f1081
	.long	2763991927                      ; 0xa4bf2b77
	.long	1079270448                      ; 0x40545c30
	;; [unrolled: 1-line block ×16, first 2 shown]
	.long	983917956                       ; 0x3aa56584
	.long	153421222                       ; 0x92505a6
	.long	750726325                       ; 0x2cbf2cb5
	.long	1014534145                      ; 0x3c789001
	.long	2091792357                      ; 0x7cae37e5
	.long	296882400                       ; 0x11b210e0
	.long	4018591985                      ; 0xef86d8f1
	.long	2038878506                      ; 0x7986d12a
	.long	2247134268                      ; 0x85f08c3c
	.long	2840132188                      ; 0xa948fa5c
	.long	3508266160                      ; 0xd11be4b0
	.long	1455028838                      ; 0x56b9fa66
	.long	399657268                       ; 0x17d24934
	.long	1682018695                      ; 0x64419187
	.long	2640231287                      ; 0x9d5ebb77
	;; [unrolled: 1-line block ×15, first 2 shown]
	.long	996186898                       ; 0x3b609b12
	.long	3893981177                      ; 0xe8196ff9
	.long	4026533880                      ; 0xf00007f8
	;; [unrolled: 1-line block ×3, first 2 shown]
	.long	952803645                       ; 0x38caa13d
	.long	2184871198                      ; 0x823a7d1e
	.long	3224094011                      ; 0xc02bc53b
	;; [unrolled: 1-line block ×3, first 2 shown]
	.long	861379413                       ; 0x33579b55
	.long	738368399                       ; 0x2c029b8f
	.long	4194384320                      ; 0xfa0139c0
	.long	2837011297                      ; 0xa9195b61
	;; [unrolled: 1-line block ×6, first 2 shown]
	.long	60430044                        ; 0x39a16dc
	.long	4131290878                      ; 0xf63e7efe
	.long	581506474                       ; 0x22a915aa
	.long	1655622513                      ; 0x62aecb71
	.long	3179087993                      ; 0xbd7d0879
	;; [unrolled: 1-line block ×8, first 2 shown]
	.long	593780490                       ; 0x23645f0a
	.long	2704745463                      ; 0xa13723f7
	.long	1167581269                      ; 0x4597e055
	;; [unrolled: 1-line block ×4, first 2 shown]
	.long	621889762                       ; 0x251148e2
	.long	4215403465                      ; 0xfb41f3c9
	.long	1867781671                      ; 0x6f541627
	.long	8035741                         ; 0x7a9d9d
	.long	4038904206                      ; 0xf0bcc98e
	.long	2045289976                      ; 0x79e8a5f8
	;; [unrolled: 1-line block ×4, first 2 shown]
	.long	956553276                       ; 0x3903d83c
	.long	3096241999                      ; 0xb88ce74f
	.long	2188329018                      ; 0x826f403a
	;; [unrolled: 1-line block ×3, first 2 shown]
	.long	996778900                       ; 0x3b69a394
	.long	2483934330                      ; 0x940dd47a
	.long	3673546814                      ; 0xdaf5e03e
	;; [unrolled: 1-line block ×8, first 2 shown]
	.long	21840044                        ; 0x14d40ac
	.long	4230756652                      ; 0xfc2c392c
	.long	3216304963                      ; 0xbfb4eb43
	;; [unrolled: 1-line block ×3, first 2 shown]
	.long	803158556                       ; 0x2fdf3a1c
	.long	1934462999                      ; 0x734d9017
	.long	1600525238                      ; 0x5f6613b6
	;; [unrolled: 1-line block ×4, first 2 shown]
	.long	161827512                       ; 0x9a54ab8
	.long	2822794708                      ; 0xa8406dd4
	.long	59908073                        ; 0x3921fe9
	.long	4051221847                      ; 0xf178bd57
	.long	925440190                       ; 0x372918be
	.long	3599942370                      ; 0xd692c2e2
	.long	2938291976                      ; 0xaf22c708
	;; [unrolled: 1-line block ×4, first 2 shown]
	.long	127787091                       ; 0x79de053
	.long	4082579845                      ; 0xf3573985
	.long	1914923136                      ; 0x72236880
	.long	62963469                        ; 0x3c0bf0d
	.long	3792639955                      ; 0xe20f17d3
	.long	1450796299                      ; 0x5679650b
	;; [unrolled: 1-line block ×3, first 2 shown]
	.long	257322213                       ; 0xf566ce5
	.long	667987389                       ; 0x27d0adbd
	;; [unrolled: 1-line block ×3, first 2 shown]
	.long	1750779366                      ; 0x685ac5e6
	.long	2344204796                      ; 0x8bb9b9fc
	;; [unrolled: 1-line block ×9, first 2 shown]
	.long	763396788                       ; 0x2d8082b4
	.long	1597708317                      ; 0x5f3b181d
	.long	1854746879                      ; 0x6e8d30ff
	;; [unrolled: 1-line block ×15, first 2 shown]
	.long	218978249                       ; 0xd0d57c9
	.long	2173193841                      ; 0x81884e71
	.long	3425797638                      ; 0xcc318606
	;; [unrolled: 1-line block ×7, first 2 shown]
	.long	814903833                       ; 0x30927219
	.long	1759522678                      ; 0x68e02f76
	.long	319754369                       ; 0x130f1081
	.long	4048528178                      ; 0xf14fa332
	.long	1079270448                      ; 0x40545c30
	;; [unrolled: 1-line block ×5, first 2 shown]
	.long	787253600                       ; 0x2eec8960
	.long	2944573315                      ; 0xaf829f83
	.long	1004789460                      ; 0x3be3ded4
	;; [unrolled: 1-line block ×10, first 2 shown]
	.long	983917956                       ; 0x3aa56584
	.long	153421222                       ; 0x92505a6
	;; [unrolled: 1-line block ×3, first 2 shown]
	.long	1014534145                      ; 0x3c789001
	.long	3951869055                      ; 0xeb8cbc7f
	.long	296882400                       ; 0x11b210e0
	.long	4018591985                      ; 0xef86d8f1
	.long	2038878506                      ; 0x7986d12a
	;; [unrolled: 1-line block ×6, first 2 shown]
	.long	399657268                       ; 0x17d24934
	.long	1682018695                      ; 0x64419187
	.long	3360119279                      ; 0xc84759ef
	;; [unrolled: 1-line block ×5, first 2 shown]
	.long	104562665                       ; 0x63b7fe9
	.long	2827623271                      ; 0xa88a1b67
	.long	249712003                       ; 0xee24d83
	.long	3413221355                      ; 0xcb719feb
	.long	2347164236                      ; 0x8be6e24c
	;; [unrolled: 1-line block ×6, first 2 shown]
	.long	902801951                       ; 0x35cfaa1f
	.long	175637375                       ; 0xa78037f
	.long	3812819970                      ; 0xe3430402
	.long	2162769758                      ; 0x80e93f5e
	;; [unrolled: 1-line block ×4, first 2 shown]
	.long	171494391                       ; 0xa38cbf7
	.long	3765826349                      ; 0xe075f32d
	.long	1725798906                      ; 0x66dd99fa
	.long	345463508                       ; 0x14975ad4
	.long	2481043227                      ; 0x93e1b71b
	.long	226569380                       ; 0xd812ca4
	.long	3250095421                      ; 0xc1b8853d
	.long	1085199388                      ; 0x40aed41c
	;; [unrolled: 1-line block ×8, first 2 shown]
	.long	81212018                        ; 0x4d73272
	.long	3691937144                      ; 0xdc0e7d78
	.long	2477407396                      ; 0x93aa3ca4
	;; [unrolled: 1-line block ×5, first 2 shown]
	.long	252917069                       ; 0xf13354d
	.long	3394860294                      ; 0xca597506
	.long	1092442235                      ; 0x411d587b
	;; [unrolled: 1-line block ×4, first 2 shown]
	.long	431096075                       ; 0x19b2010b
	.long	1701716708                      ; 0x656e22e4
	.long	639881684                       ; 0x2623d1d4
	.long	3066183997                      ; 0xb6c2413d
	.long	3660504927                      ; 0xda2edf5f
	.long	2047274                         ; 0x1f3d2a
	.long	3424756424                      ; 0xcc21a2c8
	.long	760932520                       ; 0x2d5ae8a8
	.long	2457976057                      ; 0x9281bcf9
	.long	1705265011                      ; 0x65a44773
	;; [unrolled: 1-line block ×15, first 2 shown]
	.long	62425157                        ; 0x3b88845
	.long	3662381032                      ; 0xda4b7fe8
	.long	1964107209                      ; 0x7511e5c9
	;; [unrolled: 1-line block ×8, first 2 shown]
	.long	931588693                       ; 0x3786ea55
	.long	2379606585                      ; 0x8dd5ea39
	.long	3643222352                      ; 0xd9272950
	;; [unrolled: 1-line block ×10, first 2 shown]
	.long	635424385                       ; 0x25dfce81
	.long	284062050                       ; 0x10ee7162
	.long	1547163554                      ; 0x5c37d7a2
	.long	3380046528                      ; 0xc9776ac0
	;; [unrolled: 1-line block ×7, first 2 shown]
	.long	303263160                       ; 0x12136db8
	.long	1465965696                      ; 0x5760dc80
	.long	3757919837                      ; 0xdffd4e5d
	;; [unrolled: 1-line block ×10, first 2 shown]
	.long	921764078                       ; 0x36f100ee
	.long	2933305619                      ; 0xaed6b113
	.long	1358097211                      ; 0x50f2eb3b
	;; [unrolled: 1-line block ×4, first 2 shown]
	.long	574590507                       ; 0x223f8e2b
	.long	961767386                       ; 0x395367da
	.long	21100886                        ; 0x141f956
	.long	753746372                       ; 0x2ced41c4
	.long	4072632446                      ; 0xf2bf707e
	.long	733729367                       ; 0x2bbbd257
	.long	3060214669                      ; 0xb6672b8d
	.long	289165105                       ; 0x113c4f31
	.long	426065754                       ; 0x19653f5a
	.long	2036100240                      ; 0x795c6c90
	.long	2172365757                      ; 0x817babbd
	.long	502856627                       ; 0x1df8fbb3
	.long	84490194                        ; 0x50937d2
	.long	2630806596                      ; 0x9cceec44
	.long	1206161269                      ; 0x47e48f75
	.long	1009438449                      ; 0x3c2acef1
	.long	569581317                       ; 0x21f31f05
	.long	1836947000                      ; 0x6d7d9638
	.long	3125379675                      ; 0xba49825b
	;; [unrolled: 1-line block ×12, first 2 shown]
	.long	873873707                       ; 0x3416412b
	.long	1693894743                      ; 0x64f6c857
	.long	2450223985                      ; 0x920b7371
	.long	754878026                       ; 0x2cfe864a
	.long	1943356492                      ; 0x73d5444c
	.long	401524329                       ; 0x17eec669
	.long	759931885                       ; 0x2d4ba3ed
	;; [unrolled: 1-line block ×5, first 2 shown]
	.long	3358729722                      ; 0xc83225fa
	.long	3649058074                      ; 0xd980351a
	.long	906423787                       ; 0x3606edeb
	.long	1333804225                      ; 0x4f803cc1
	.long	875187278                       ; 0x342a4c4e
	.long	1115838692                      ; 0x428258e4
	.long	2476325972                      ; 0x9399bc54
	;; [unrolled: 1-line block ×4, first 2 shown]
	.size	_ZL22d_xorwow_jump_matrices, 102400

	.type	__hip_cuid_936b785346371bd2,@object ; @__hip_cuid_936b785346371bd2
	.section	.bss,"aw",@nobits
	.globl	__hip_cuid_936b785346371bd2
__hip_cuid_936b785346371bd2:
	.byte	0                               ; 0x0
	.size	__hip_cuid_936b785346371bd2, 1

	.ident	"AMD clang version 22.0.0git (https://github.com/RadeonOpenCompute/llvm-project roc-7.2.4 26084 f58b06dce1f9c15707c5f808fd002e18c2accf7e)"
	.section	".note.GNU-stack","",@progbits
	.addrsig
	.addrsig_sym __hip_cuid_936b785346371bd2
	.amdgpu_metadata
---
amdhsa.kernels:
  - .args:
      - .address_space:  global
        .offset:         0
        .size:           8
        .value_kind:     global_buffer
      - .address_space:  global
        .offset:         8
        .size:           8
        .value_kind:     global_buffer
      - .actual_access:  write_only
        .address_space:  global
        .offset:         16
        .size:           8
        .value_kind:     global_buffer
      - .actual_access:  write_only
        .address_space:  global
        .offset:         24
        .size:           8
        .value_kind:     global_buffer
      - .actual_access:  read_only
        .address_space:  global
        .offset:         32
        .size:           8
        .value_kind:     global_buffer
      - .address_space:  global
        .offset:         40
        .size:           8
        .value_kind:     global_buffer
      - .actual_access:  read_only
        .address_space:  global
        .offset:         48
        .size:           8
        .value_kind:     global_buffer
      - .actual_access:  read_only
        .address_space:  global
        .offset:         56
        .size:           8
        .value_kind:     global_buffer
      - .actual_access:  read_only
        .address_space:  global
        .offset:         64
        .size:           8
        .value_kind:     global_buffer
      - .actual_access:  read_only
        .address_space:  global
        .offset:         72
        .size:           8
        .value_kind:     global_buffer
      - .actual_access:  read_only
        .address_space:  global
        .offset:         80
        .size:           8
        .value_kind:     global_buffer
      - .actual_access:  read_only
        .address_space:  global
        .offset:         88
        .size:           8
        .value_kind:     global_buffer
      - .offset:         96
        .size:           4
        .value_kind:     by_value
      - .offset:         104
        .size:           8
        .value_kind:     by_value
      - .offset:         112
        .size:           4
        .value_kind:     hidden_block_count_x
      - .offset:         116
        .size:           4
        .value_kind:     hidden_block_count_y
      - .offset:         120
        .size:           4
        .value_kind:     hidden_block_count_z
      - .offset:         124
        .size:           2
        .value_kind:     hidden_group_size_x
      - .offset:         126
        .size:           2
        .value_kind:     hidden_group_size_y
      - .offset:         128
        .size:           2
        .value_kind:     hidden_group_size_z
      - .offset:         130
        .size:           2
        .value_kind:     hidden_remainder_x
      - .offset:         132
        .size:           2
        .value_kind:     hidden_remainder_y
      - .offset:         134
        .size:           2
        .value_kind:     hidden_remainder_z
      - .offset:         152
        .size:           8
        .value_kind:     hidden_global_offset_x
      - .offset:         160
        .size:           8
        .value_kind:     hidden_global_offset_y
      - .offset:         168
        .size:           8
        .value_kind:     hidden_global_offset_z
      - .offset:         176
        .size:           2
        .value_kind:     hidden_grid_dims
    .group_segment_fixed_size: 3080
    .kernarg_segment_align: 8
    .kernarg_segment_size: 368
    .language:       OpenCL C
    .language_version:
      - 2
      - 0
    .max_flat_workgroup_size: 64
    .name:           SoftMaxWarp
    .private_segment_fixed_size: 0
    .sgpr_count:     57
    .sgpr_spill_count: 0
    .symbol:         SoftMaxWarp.kd
    .uniform_work_group_size: 1
    .uses_dynamic_stack: false
    .vgpr_count:     29
    .vgpr_spill_count: 0
    .wavefront_size: 32
  - .args:
      - .address_space:  global
        .offset:         0
        .size:           8
        .value_kind:     global_buffer
      - .address_space:  global
        .offset:         8
        .size:           8
        .value_kind:     global_buffer
      - .actual_access:  write_only
        .address_space:  global
        .offset:         16
        .size:           8
        .value_kind:     global_buffer
      - .actual_access:  write_only
        .address_space:  global
        .offset:         24
        .size:           8
        .value_kind:     global_buffer
      - .actual_access:  read_only
        .address_space:  global
        .offset:         32
        .size:           8
        .value_kind:     global_buffer
      - .address_space:  global
        .offset:         40
        .size:           8
        .value_kind:     global_buffer
      - .actual_access:  read_only
        .address_space:  global
        .offset:         48
        .size:           8
        .value_kind:     global_buffer
      - .actual_access:  read_only
        .address_space:  global
        .offset:         56
        .size:           8
        .value_kind:     global_buffer
      - .actual_access:  read_only
        .address_space:  global
        .offset:         64
        .size:           8
        .value_kind:     global_buffer
      - .actual_access:  read_only
        .address_space:  global
        .offset:         72
        .size:           8
        .value_kind:     global_buffer
      - .actual_access:  read_only
        .address_space:  global
        .offset:         80
        .size:           8
        .value_kind:     global_buffer
      - .actual_access:  read_only
        .address_space:  global
        .offset:         88
        .size:           8
        .value_kind:     global_buffer
      - .offset:         96
        .size:           4
        .value_kind:     by_value
      - .offset:         104
        .size:           8
        .value_kind:     by_value
      - .offset:         112
        .size:           4
        .value_kind:     hidden_block_count_x
      - .offset:         116
        .size:           4
        .value_kind:     hidden_block_count_y
      - .offset:         120
        .size:           4
        .value_kind:     hidden_block_count_z
      - .offset:         124
        .size:           2
        .value_kind:     hidden_group_size_x
      - .offset:         126
        .size:           2
        .value_kind:     hidden_group_size_y
      - .offset:         128
        .size:           2
        .value_kind:     hidden_group_size_z
      - .offset:         130
        .size:           2
        .value_kind:     hidden_remainder_x
      - .offset:         132
        .size:           2
        .value_kind:     hidden_remainder_y
      - .offset:         134
        .size:           2
        .value_kind:     hidden_remainder_z
      - .offset:         152
        .size:           8
        .value_kind:     hidden_global_offset_x
      - .offset:         160
        .size:           8
        .value_kind:     hidden_global_offset_y
      - .offset:         168
        .size:           8
        .value_kind:     hidden_global_offset_z
      - .offset:         176
        .size:           2
        .value_kind:     hidden_grid_dims
    .group_segment_fixed_size: 3080
    .kernarg_segment_align: 8
    .kernarg_segment_size: 368
    .language:       OpenCL C
    .language_version:
      - 2
      - 0
    .max_flat_workgroup_size: 64
    .name:           SoftMaxBlock
    .private_segment_fixed_size: 0
    .sgpr_count:     57
    .sgpr_spill_count: 0
    .symbol:         SoftMaxBlock.kd
    .uniform_work_group_size: 1
    .uses_dynamic_stack: false
    .vgpr_count:     29
    .vgpr_spill_count: 0
    .wavefront_size: 32
  - .args:
      - .address_space:  global
        .offset:         0
        .size:           8
        .value_kind:     global_buffer
      - .address_space:  global
        .offset:         8
        .size:           8
        .value_kind:     global_buffer
      - .actual_access:  write_only
        .address_space:  global
        .offset:         16
        .size:           8
        .value_kind:     global_buffer
      - .actual_access:  write_only
        .address_space:  global
        .offset:         24
        .size:           8
        .value_kind:     global_buffer
      - .actual_access:  read_only
        .address_space:  global
        .offset:         32
        .size:           8
        .value_kind:     global_buffer
      - .address_space:  global
        .offset:         40
        .size:           8
        .value_kind:     global_buffer
      - .actual_access:  read_only
        .address_space:  global
        .offset:         48
        .size:           8
        .value_kind:     global_buffer
      - .actual_access:  read_only
        .address_space:  global
        .offset:         56
        .size:           8
        .value_kind:     global_buffer
      - .actual_access:  read_only
        .address_space:  global
        .offset:         64
        .size:           8
        .value_kind:     global_buffer
      - .actual_access:  read_only
        .address_space:  global
        .offset:         72
        .size:           8
        .value_kind:     global_buffer
      - .actual_access:  read_only
        .address_space:  global
        .offset:         80
        .size:           8
        .value_kind:     global_buffer
      - .actual_access:  read_only
        .address_space:  global
        .offset:         88
        .size:           8
        .value_kind:     global_buffer
      - .offset:         96
        .size:           4
        .value_kind:     by_value
      - .offset:         104
        .size:           8
        .value_kind:     by_value
      - .offset:         112
        .size:           4
        .value_kind:     hidden_block_count_x
      - .offset:         116
        .size:           4
        .value_kind:     hidden_block_count_y
      - .offset:         120
        .size:           4
        .value_kind:     hidden_block_count_z
      - .offset:         124
        .size:           2
        .value_kind:     hidden_group_size_x
      - .offset:         126
        .size:           2
        .value_kind:     hidden_group_size_y
      - .offset:         128
        .size:           2
        .value_kind:     hidden_group_size_z
      - .offset:         130
        .size:           2
        .value_kind:     hidden_remainder_x
      - .offset:         132
        .size:           2
        .value_kind:     hidden_remainder_y
      - .offset:         134
        .size:           2
        .value_kind:     hidden_remainder_z
      - .offset:         152
        .size:           8
        .value_kind:     hidden_global_offset_x
      - .offset:         160
        .size:           8
        .value_kind:     hidden_global_offset_y
      - .offset:         168
        .size:           8
        .value_kind:     hidden_global_offset_z
      - .offset:         176
        .size:           2
        .value_kind:     hidden_grid_dims
    .group_segment_fixed_size: 3080
    .kernarg_segment_align: 8
    .kernarg_segment_size: 368
    .language:       OpenCL C
    .language_version:
      - 2
      - 0
    .max_flat_workgroup_size: 64
    .name:           SoftMaxCommon
    .private_segment_fixed_size: 0
    .sgpr_count:     57
    .sgpr_spill_count: 0
    .symbol:         SoftMaxCommon.kd
    .uniform_work_group_size: 1
    .uses_dynamic_stack: false
    .vgpr_count:     29
    .vgpr_spill_count: 0
    .wavefront_size: 32
  - .args:
      - .actual_access:  read_only
        .address_space:  global
        .offset:         0
        .size:           8
        .value_kind:     global_buffer
      - .actual_access:  write_only
        .address_space:  global
        .offset:         8
        .size:           8
        .value_kind:     global_buffer
      - .address_space:  global
        .offset:         16
        .size:           8
        .value_kind:     global_buffer
      - .actual_access:  read_only
        .address_space:  global
        .offset:         24
        .size:           8
        .value_kind:     global_buffer
      - .actual_access:  read_only
        .address_space:  global
        .offset:         32
        .size:           8
        .value_kind:     global_buffer
      - .actual_access:  read_only
        .address_space:  global
        .offset:         40
        .size:           8
        .value_kind:     global_buffer
      - .offset:         48
        .size:           8
        .value_kind:     by_value
      - .offset:         56
        .size:           4
        .value_kind:     hidden_block_count_x
      - .offset:         60
        .size:           4
        .value_kind:     hidden_block_count_y
      - .offset:         64
        .size:           4
        .value_kind:     hidden_block_count_z
      - .offset:         68
        .size:           2
        .value_kind:     hidden_group_size_x
      - .offset:         70
        .size:           2
        .value_kind:     hidden_group_size_y
      - .offset:         72
        .size:           2
        .value_kind:     hidden_group_size_z
      - .offset:         74
        .size:           2
        .value_kind:     hidden_remainder_x
      - .offset:         76
        .size:           2
        .value_kind:     hidden_remainder_y
      - .offset:         78
        .size:           2
        .value_kind:     hidden_remainder_z
      - .offset:         96
        .size:           8
        .value_kind:     hidden_global_offset_x
      - .offset:         104
        .size:           8
        .value_kind:     hidden_global_offset_y
      - .offset:         112
        .size:           8
        .value_kind:     hidden_global_offset_z
      - .offset:         120
        .size:           2
        .value_kind:     hidden_grid_dims
    .group_segment_fixed_size: 8
    .kernarg_segment_align: 8
    .kernarg_segment_size: 312
    .language:       OpenCL C
    .language_version:
      - 2
      - 0
    .max_flat_workgroup_size: 64
    .name:           ScaleReduce
    .private_segment_fixed_size: 0
    .sgpr_count:     27
    .sgpr_spill_count: 0
    .symbol:         ScaleReduce.kd
    .uniform_work_group_size: 1
    .uses_dynamic_stack: false
    .vgpr_count:     10
    .vgpr_spill_count: 0
    .wavefront_size: 32
  - .args:
      - .actual_access:  read_only
        .address_space:  global
        .offset:         0
        .size:           8
        .value_kind:     global_buffer
      - .actual_access:  read_only
        .address_space:  global
        .offset:         8
        .size:           8
        .value_kind:     global_buffer
      - .actual_access:  write_only
        .address_space:  global
        .offset:         16
        .size:           8
        .value_kind:     global_buffer
      - .actual_access:  read_only
        .address_space:  global
        .offset:         24
        .size:           8
        .value_kind:     global_buffer
      - .actual_access:  read_only
        .address_space:  global
        .offset:         32
        .size:           8
        .value_kind:     global_buffer
      - .actual_access:  read_only
        .address_space:  global
        .offset:         40
        .size:           8
        .value_kind:     global_buffer
      - .offset:         48
        .size:           4
        .value_kind:     by_value
      - .offset:         56
        .size:           8
        .value_kind:     by_value
      - .offset:         64
        .size:           4
        .value_kind:     hidden_block_count_x
      - .offset:         68
        .size:           4
        .value_kind:     hidden_block_count_y
      - .offset:         72
        .size:           4
        .value_kind:     hidden_block_count_z
      - .offset:         76
        .size:           2
        .value_kind:     hidden_group_size_x
      - .offset:         78
        .size:           2
        .value_kind:     hidden_group_size_y
      - .offset:         80
        .size:           2
        .value_kind:     hidden_group_size_z
      - .offset:         82
        .size:           2
        .value_kind:     hidden_remainder_x
      - .offset:         84
        .size:           2
        .value_kind:     hidden_remainder_y
      - .offset:         86
        .size:           2
        .value_kind:     hidden_remainder_z
      - .offset:         104
        .size:           8
        .value_kind:     hidden_global_offset_x
      - .offset:         112
        .size:           8
        .value_kind:     hidden_global_offset_y
      - .offset:         120
        .size:           8
        .value_kind:     hidden_global_offset_z
      - .offset:         128
        .size:           2
        .value_kind:     hidden_grid_dims
    .group_segment_fixed_size: 0
    .kernarg_segment_align: 8
    .kernarg_segment_size: 320
    .language:       OpenCL C
    .language_version:
      - 2
      - 0
    .max_flat_workgroup_size: 64
    .name:           ScaleRowReduceWarp
    .private_segment_fixed_size: 0
    .sgpr_count:     23
    .sgpr_spill_count: 0
    .symbol:         ScaleRowReduceWarp.kd
    .uniform_work_group_size: 1
    .uses_dynamic_stack: false
    .vgpr_count:     12
    .vgpr_spill_count: 0
    .wavefront_size: 32
  - .args:
      - .actual_access:  read_only
        .address_space:  global
        .offset:         0
        .size:           8
        .value_kind:     global_buffer
      - .actual_access:  read_only
        .address_space:  global
        .offset:         8
        .size:           8
        .value_kind:     global_buffer
      - .actual_access:  write_only
        .address_space:  global
        .offset:         16
        .size:           8
        .value_kind:     global_buffer
      - .actual_access:  read_only
        .address_space:  global
        .offset:         24
        .size:           8
        .value_kind:     global_buffer
      - .actual_access:  read_only
        .address_space:  global
        .offset:         32
        .size:           8
        .value_kind:     global_buffer
      - .actual_access:  read_only
        .address_space:  global
        .offset:         40
        .size:           8
        .value_kind:     global_buffer
      - .offset:         48
        .size:           4
        .value_kind:     by_value
      - .offset:         56
        .size:           8
        .value_kind:     by_value
      - .offset:         64
        .size:           4
        .value_kind:     hidden_block_count_x
      - .offset:         68
        .size:           4
        .value_kind:     hidden_block_count_y
      - .offset:         72
        .size:           4
        .value_kind:     hidden_block_count_z
      - .offset:         76
        .size:           2
        .value_kind:     hidden_group_size_x
      - .offset:         78
        .size:           2
        .value_kind:     hidden_group_size_y
      - .offset:         80
        .size:           2
        .value_kind:     hidden_group_size_z
      - .offset:         82
        .size:           2
        .value_kind:     hidden_remainder_x
      - .offset:         84
        .size:           2
        .value_kind:     hidden_remainder_y
      - .offset:         86
        .size:           2
        .value_kind:     hidden_remainder_z
      - .offset:         104
        .size:           8
        .value_kind:     hidden_global_offset_x
      - .offset:         112
        .size:           8
        .value_kind:     hidden_global_offset_y
      - .offset:         120
        .size:           8
        .value_kind:     hidden_global_offset_z
      - .offset:         128
        .size:           2
        .value_kind:     hidden_grid_dims
    .group_segment_fixed_size: 8
    .kernarg_segment_align: 8
    .kernarg_segment_size: 320
    .language:       OpenCL C
    .language_version:
      - 2
      - 0
    .max_flat_workgroup_size: 64
    .name:           ScaleRowReduceBlock
    .private_segment_fixed_size: 0
    .sgpr_count:     29
    .sgpr_spill_count: 0
    .symbol:         ScaleRowReduceBlock.kd
    .uniform_work_group_size: 1
    .uses_dynamic_stack: false
    .vgpr_count:     11
    .vgpr_spill_count: 0
    .wavefront_size: 32
  - .args:
      - .actual_access:  read_only
        .address_space:  global
        .offset:         0
        .size:           8
        .value_kind:     global_buffer
      - .actual_access:  read_only
        .address_space:  global
        .offset:         8
        .size:           8
        .value_kind:     global_buffer
      - .actual_access:  write_only
        .address_space:  global
        .offset:         16
        .size:           8
        .value_kind:     global_buffer
      - .actual_access:  read_only
        .address_space:  global
        .offset:         24
        .size:           8
        .value_kind:     global_buffer
      - .actual_access:  read_only
        .address_space:  global
        .offset:         32
        .size:           8
        .value_kind:     global_buffer
      - .actual_access:  read_only
        .address_space:  global
        .offset:         40
        .size:           8
        .value_kind:     global_buffer
      - .offset:         48
        .size:           4
        .value_kind:     by_value
      - .offset:         56
        .size:           8
        .value_kind:     by_value
      - .offset:         64
        .size:           4
        .value_kind:     hidden_block_count_x
      - .offset:         68
        .size:           4
        .value_kind:     hidden_block_count_y
      - .offset:         72
        .size:           4
        .value_kind:     hidden_block_count_z
      - .offset:         76
        .size:           2
        .value_kind:     hidden_group_size_x
      - .offset:         78
        .size:           2
        .value_kind:     hidden_group_size_y
      - .offset:         80
        .size:           2
        .value_kind:     hidden_group_size_z
      - .offset:         82
        .size:           2
        .value_kind:     hidden_remainder_x
      - .offset:         84
        .size:           2
        .value_kind:     hidden_remainder_y
      - .offset:         86
        .size:           2
        .value_kind:     hidden_remainder_z
      - .offset:         104
        .size:           8
        .value_kind:     hidden_global_offset_x
      - .offset:         112
        .size:           8
        .value_kind:     hidden_global_offset_y
      - .offset:         120
        .size:           8
        .value_kind:     hidden_global_offset_z
      - .offset:         128
        .size:           2
        .value_kind:     hidden_grid_dims
    .group_segment_fixed_size: 8
    .kernarg_segment_align: 8
    .kernarg_segment_size: 320
    .language:       OpenCL C
    .language_version:
      - 2
      - 0
    .max_flat_workgroup_size: 64
    .name:           ScaleRowReduceCommon
    .private_segment_fixed_size: 0
    .sgpr_count:     30
    .sgpr_spill_count: 0
    .symbol:         ScaleRowReduceCommon.kd
    .uniform_work_group_size: 1
    .uses_dynamic_stack: false
    .vgpr_count:     9
    .vgpr_spill_count: 0
    .wavefront_size: 32
  - .args:
      - .address_space:  global
        .offset:         0
        .size:           8
        .value_kind:     global_buffer
      - .address_space:  global
        .offset:         8
        .size:           8
        .value_kind:     global_buffer
      - .address_space:  global
        .offset:         16
        .size:           8
        .value_kind:     global_buffer
      - .actual_access:  read_only
        .address_space:  global
        .offset:         24
        .size:           8
        .value_kind:     global_buffer
      - .actual_access:  read_only
        .address_space:  global
        .offset:         32
        .size:           8
        .value_kind:     global_buffer
      - .actual_access:  read_only
        .address_space:  global
        .offset:         40
        .size:           8
        .value_kind:     global_buffer
      - .address_space:  global
        .offset:         48
        .size:           8
        .value_kind:     global_buffer
      - .actual_access:  read_only
        .address_space:  global
        .offset:         56
        .size:           8
        .value_kind:     global_buffer
      - .actual_access:  read_only
        .address_space:  global
        .offset:         64
        .size:           8
        .value_kind:     global_buffer
      - .actual_access:  read_only
        .address_space:  global
        .offset:         72
        .size:           8
        .value_kind:     global_buffer
      - .actual_access:  read_only
        .address_space:  global
        .offset:         80
        .size:           8
        .value_kind:     global_buffer
      - .actual_access:  read_only
        .address_space:  global
        .offset:         88
        .size:           8
        .value_kind:     global_buffer
      - .actual_access:  read_only
        .address_space:  global
        .offset:         96
        .size:           8
        .value_kind:     global_buffer
      - .actual_access:  read_only
        .address_space:  global
        .offset:         104
        .size:           8
        .value_kind:     global_buffer
      - .actual_access:  read_only
        .address_space:  global
        .offset:         112
        .size:           8
        .value_kind:     global_buffer
      - .actual_access:  read_only
        .address_space:  global
        .offset:         120
        .size:           8
        .value_kind:     global_buffer
      - .offset:         128
        .size:           4
        .value_kind:     by_value
      - .offset:         132
        .size:           4
        .value_kind:     by_value
      - .offset:         136
        .size:           8
        .value_kind:     by_value
      - .offset:         144
        .size:           4
        .value_kind:     hidden_block_count_x
      - .offset:         148
        .size:           4
        .value_kind:     hidden_block_count_y
      - .offset:         152
        .size:           4
        .value_kind:     hidden_block_count_z
      - .offset:         156
        .size:           2
        .value_kind:     hidden_group_size_x
      - .offset:         158
        .size:           2
        .value_kind:     hidden_group_size_y
      - .offset:         160
        .size:           2
        .value_kind:     hidden_group_size_z
      - .offset:         162
        .size:           2
        .value_kind:     hidden_remainder_x
      - .offset:         164
        .size:           2
        .value_kind:     hidden_remainder_y
      - .offset:         166
        .size:           2
        .value_kind:     hidden_remainder_z
      - .offset:         184
        .size:           8
        .value_kind:     hidden_global_offset_x
      - .offset:         192
        .size:           8
        .value_kind:     hidden_global_offset_y
      - .offset:         200
        .size:           8
        .value_kind:     hidden_global_offset_z
      - .offset:         208
        .size:           2
        .value_kind:     hidden_grid_dims
    .group_segment_fixed_size: 3080
    .kernarg_segment_align: 8
    .kernarg_segment_size: 400
    .language:       OpenCL C
    .language_version:
      - 2
      - 0
    .max_flat_workgroup_size: 64
    .name:           BwdAttentionWarp
    .private_segment_fixed_size: 0
    .sgpr_count:     66
    .sgpr_spill_count: 0
    .symbol:         BwdAttentionWarp.kd
    .uniform_work_group_size: 1
    .uses_dynamic_stack: false
    .vgpr_count:     29
    .vgpr_spill_count: 0
    .wavefront_size: 32
  - .args:
      - .address_space:  global
        .offset:         0
        .size:           8
        .value_kind:     global_buffer
      - .address_space:  global
        .offset:         8
        .size:           8
        .value_kind:     global_buffer
      - .address_space:  global
        .offset:         16
        .size:           8
        .value_kind:     global_buffer
      - .actual_access:  read_only
        .address_space:  global
        .offset:         24
        .size:           8
        .value_kind:     global_buffer
      - .actual_access:  read_only
        .address_space:  global
        .offset:         32
        .size:           8
        .value_kind:     global_buffer
      - .actual_access:  read_only
        .address_space:  global
        .offset:         40
        .size:           8
        .value_kind:     global_buffer
      - .address_space:  global
        .offset:         48
        .size:           8
        .value_kind:     global_buffer
      - .actual_access:  read_only
        .address_space:  global
        .offset:         56
        .size:           8
        .value_kind:     global_buffer
      - .actual_access:  read_only
        .address_space:  global
        .offset:         64
        .size:           8
        .value_kind:     global_buffer
      - .actual_access:  read_only
        .address_space:  global
        .offset:         72
        .size:           8
        .value_kind:     global_buffer
      - .actual_access:  read_only
        .address_space:  global
        .offset:         80
        .size:           8
        .value_kind:     global_buffer
      - .actual_access:  read_only
        .address_space:  global
        .offset:         88
        .size:           8
        .value_kind:     global_buffer
      - .actual_access:  read_only
        .address_space:  global
        .offset:         96
        .size:           8
        .value_kind:     global_buffer
      - .actual_access:  read_only
        .address_space:  global
        .offset:         104
        .size:           8
        .value_kind:     global_buffer
      - .actual_access:  read_only
        .address_space:  global
        .offset:         112
        .size:           8
        .value_kind:     global_buffer
      - .actual_access:  read_only
        .address_space:  global
        .offset:         120
        .size:           8
        .value_kind:     global_buffer
      - .offset:         128
        .size:           4
        .value_kind:     by_value
      - .offset:         132
        .size:           4
        .value_kind:     by_value
      - .offset:         136
        .size:           8
        .value_kind:     by_value
      - .offset:         144
        .size:           4
        .value_kind:     hidden_block_count_x
      - .offset:         148
        .size:           4
        .value_kind:     hidden_block_count_y
      - .offset:         152
        .size:           4
        .value_kind:     hidden_block_count_z
      - .offset:         156
        .size:           2
        .value_kind:     hidden_group_size_x
      - .offset:         158
        .size:           2
        .value_kind:     hidden_group_size_y
      - .offset:         160
        .size:           2
        .value_kind:     hidden_group_size_z
      - .offset:         162
        .size:           2
        .value_kind:     hidden_remainder_x
      - .offset:         164
        .size:           2
        .value_kind:     hidden_remainder_y
      - .offset:         166
        .size:           2
        .value_kind:     hidden_remainder_z
      - .offset:         184
        .size:           8
        .value_kind:     hidden_global_offset_x
      - .offset:         192
        .size:           8
        .value_kind:     hidden_global_offset_y
      - .offset:         200
        .size:           8
        .value_kind:     hidden_global_offset_z
      - .offset:         208
        .size:           2
        .value_kind:     hidden_grid_dims
    .group_segment_fixed_size: 3080
    .kernarg_segment_align: 8
    .kernarg_segment_size: 400
    .language:       OpenCL C
    .language_version:
      - 2
      - 0
    .max_flat_workgroup_size: 64
    .name:           BwdAttentionBlock
    .private_segment_fixed_size: 0
    .sgpr_count:     66
    .sgpr_spill_count: 0
    .symbol:         BwdAttentionBlock.kd
    .uniform_work_group_size: 1
    .uses_dynamic_stack: false
    .vgpr_count:     29
    .vgpr_spill_count: 0
    .wavefront_size: 32
  - .args:
      - .address_space:  global
        .offset:         0
        .size:           8
        .value_kind:     global_buffer
      - .address_space:  global
        .offset:         8
        .size:           8
        .value_kind:     global_buffer
      - .address_space:  global
        .offset:         16
        .size:           8
        .value_kind:     global_buffer
      - .actual_access:  read_only
        .address_space:  global
        .offset:         24
        .size:           8
        .value_kind:     global_buffer
      - .actual_access:  read_only
        .address_space:  global
        .offset:         32
        .size:           8
        .value_kind:     global_buffer
      - .actual_access:  read_only
        .address_space:  global
        .offset:         40
        .size:           8
        .value_kind:     global_buffer
      - .address_space:  global
        .offset:         48
        .size:           8
        .value_kind:     global_buffer
      - .actual_access:  read_only
        .address_space:  global
        .offset:         56
        .size:           8
        .value_kind:     global_buffer
      - .actual_access:  read_only
        .address_space:  global
        .offset:         64
        .size:           8
        .value_kind:     global_buffer
      - .actual_access:  read_only
        .address_space:  global
        .offset:         72
        .size:           8
        .value_kind:     global_buffer
      - .actual_access:  read_only
        .address_space:  global
        .offset:         80
        .size:           8
        .value_kind:     global_buffer
      - .actual_access:  read_only
        .address_space:  global
        .offset:         88
        .size:           8
        .value_kind:     global_buffer
      - .actual_access:  read_only
        .address_space:  global
        .offset:         96
        .size:           8
        .value_kind:     global_buffer
      - .actual_access:  read_only
        .address_space:  global
        .offset:         104
        .size:           8
        .value_kind:     global_buffer
      - .actual_access:  read_only
        .address_space:  global
        .offset:         112
        .size:           8
        .value_kind:     global_buffer
      - .actual_access:  read_only
        .address_space:  global
        .offset:         120
        .size:           8
        .value_kind:     global_buffer
      - .offset:         128
        .size:           4
        .value_kind:     by_value
      - .offset:         132
        .size:           4
        .value_kind:     by_value
      - .offset:         136
        .size:           8
        .value_kind:     by_value
      - .offset:         144
        .size:           4
        .value_kind:     hidden_block_count_x
      - .offset:         148
        .size:           4
        .value_kind:     hidden_block_count_y
      - .offset:         152
        .size:           4
        .value_kind:     hidden_block_count_z
      - .offset:         156
        .size:           2
        .value_kind:     hidden_group_size_x
      - .offset:         158
        .size:           2
        .value_kind:     hidden_group_size_y
      - .offset:         160
        .size:           2
        .value_kind:     hidden_group_size_z
      - .offset:         162
        .size:           2
        .value_kind:     hidden_remainder_x
      - .offset:         164
        .size:           2
        .value_kind:     hidden_remainder_y
      - .offset:         166
        .size:           2
        .value_kind:     hidden_remainder_z
      - .offset:         184
        .size:           8
        .value_kind:     hidden_global_offset_x
      - .offset:         192
        .size:           8
        .value_kind:     hidden_global_offset_y
      - .offset:         200
        .size:           8
        .value_kind:     hidden_global_offset_z
      - .offset:         208
        .size:           2
        .value_kind:     hidden_grid_dims
    .group_segment_fixed_size: 3080
    .kernarg_segment_align: 8
    .kernarg_segment_size: 400
    .language:       OpenCL C
    .language_version:
      - 2
      - 0
    .max_flat_workgroup_size: 64
    .name:           BwdAttentionCommon
    .private_segment_fixed_size: 0
    .sgpr_count:     66
    .sgpr_spill_count: 0
    .symbol:         BwdAttentionCommon.kd
    .uniform_work_group_size: 1
    .uses_dynamic_stack: false
    .vgpr_count:     29
    .vgpr_spill_count: 0
    .wavefront_size: 32
amdhsa.target:   amdgcn-amd-amdhsa--gfx1250
amdhsa.version:
  - 1
  - 2
...

	.end_amdgpu_metadata
